;; amdgpu-corpus repo=ROCm/rocFFT kind=compiled arch=gfx950 opt=O3
	.text
	.amdgcn_target "amdgcn-amd-amdhsa--gfx950"
	.amdhsa_code_object_version 6
	.protected	fft_rtc_fwd_len680_factors_17_4_10_wgs_204_tpt_68_halfLds_sp_op_CI_CI_unitstride_sbrr_C2R_dirReg ; -- Begin function fft_rtc_fwd_len680_factors_17_4_10_wgs_204_tpt_68_halfLds_sp_op_CI_CI_unitstride_sbrr_C2R_dirReg
	.globl	fft_rtc_fwd_len680_factors_17_4_10_wgs_204_tpt_68_halfLds_sp_op_CI_CI_unitstride_sbrr_C2R_dirReg
	.p2align	8
	.type	fft_rtc_fwd_len680_factors_17_4_10_wgs_204_tpt_68_halfLds_sp_op_CI_CI_unitstride_sbrr_C2R_dirReg,@function
fft_rtc_fwd_len680_factors_17_4_10_wgs_204_tpt_68_halfLds_sp_op_CI_CI_unitstride_sbrr_C2R_dirReg: ; @fft_rtc_fwd_len680_factors_17_4_10_wgs_204_tpt_68_halfLds_sp_op_CI_CI_unitstride_sbrr_C2R_dirReg
; %bb.0:
	s_load_dwordx4 s[4:7], s[0:1], 0x58
	s_load_dwordx4 s[8:11], s[0:1], 0x0
	;; [unrolled: 1-line block ×3, first 2 shown]
	v_mul_u32_u24_e32 v1, 0x3c4, v0
	v_lshrrev_b32_e32 v2, 16, v1
	v_mad_u64_u32 v[4:5], s[2:3], s2, 3, v[2:3]
	v_mov_b32_e32 v6, 0
	v_mov_b32_e32 v5, v6
	s_waitcnt lgkmcnt(0)
	v_cmp_lt_u64_e64 s[2:3], s[10:11], 2
	v_mov_b64_e32 v[2:3], 0
	s_and_b64 vcc, exec, s[2:3]
	v_mov_b64_e32 v[36:37], v[2:3]
	v_mov_b64_e32 v[38:39], v[4:5]
	s_cbranch_vccnz .LBB0_8
; %bb.1:
	s_load_dwordx2 s[2:3], s[0:1], 0x10
	s_add_u32 s16, s14, 8
	s_addc_u32 s17, s15, 0
	s_add_u32 s18, s12, 8
	s_addc_u32 s19, s13, 0
	s_waitcnt lgkmcnt(0)
	s_add_u32 s20, s2, 8
	v_mov_b64_e32 v[2:3], 0
	s_addc_u32 s21, s3, 0
	s_mov_b64 s[22:23], 1
	v_mov_b64_e32 v[36:37], v[2:3]
	v_mov_b64_e32 v[8:9], v[4:5]
.LBB0_2:                                ; =>This Inner Loop Header: Depth=1
	s_load_dwordx2 s[24:25], s[20:21], 0x0
                                        ; implicit-def: $vgpr38_vgpr39
	s_waitcnt lgkmcnt(0)
	v_or_b32_e32 v7, s25, v9
	v_cmp_ne_u64_e32 vcc, 0, v[6:7]
	s_and_saveexec_b64 s[2:3], vcc
	s_xor_b64 s[26:27], exec, s[2:3]
	s_cbranch_execz .LBB0_4
; %bb.3:                                ;   in Loop: Header=BB0_2 Depth=1
	v_cvt_f32_u32_e32 v1, s24
	v_cvt_f32_u32_e32 v5, s25
	s_sub_u32 s2, 0, s24
	s_subb_u32 s3, 0, s25
	v_fmac_f32_e32 v1, 0x4f800000, v5
	v_rcp_f32_e32 v1, v1
	s_nop 0
	v_mul_f32_e32 v1, 0x5f7ffffc, v1
	v_mul_f32_e32 v5, 0x2f800000, v1
	v_trunc_f32_e32 v5, v5
	v_fmac_f32_e32 v1, 0xcf800000, v5
	v_cvt_u32_f32_e32 v5, v5
	v_cvt_u32_f32_e32 v1, v1
	v_mul_lo_u32 v7, s2, v5
	v_mul_hi_u32 v10, s2, v1
	v_mul_lo_u32 v11, s3, v1
	v_add_u32_e32 v7, v10, v7
	v_mul_lo_u32 v14, s2, v1
	v_add_u32_e32 v7, v7, v11
	v_mul_hi_u32 v10, v1, v14
	v_mul_hi_u32 v13, v1, v7
	v_mul_lo_u32 v12, v1, v7
	v_mov_b32_e32 v11, v6
	v_lshl_add_u64 v[10:11], v[10:11], 0, v[12:13]
	v_mul_hi_u32 v13, v5, v14
	v_mul_lo_u32 v14, v5, v14
	v_add_co_u32_e32 v10, vcc, v10, v14
	v_mul_hi_u32 v12, v5, v7
	s_nop 0
	v_addc_co_u32_e32 v10, vcc, v11, v13, vcc
	v_mov_b32_e32 v11, v6
	s_nop 0
	v_addc_co_u32_e32 v13, vcc, 0, v12, vcc
	v_mul_lo_u32 v12, v5, v7
	v_lshl_add_u64 v[10:11], v[10:11], 0, v[12:13]
	v_add_co_u32_e32 v1, vcc, v1, v10
	v_mul_hi_u32 v10, s2, v1
	s_nop 0
	v_addc_co_u32_e32 v5, vcc, v5, v11, vcc
	v_mul_lo_u32 v7, s2, v5
	v_add_u32_e32 v7, v10, v7
	v_mul_lo_u32 v10, s3, v1
	v_add_u32_e32 v7, v7, v10
	v_mul_lo_u32 v12, s2, v1
	v_mul_hi_u32 v15, v5, v12
	v_mul_lo_u32 v16, v5, v12
	v_mul_hi_u32 v11, v1, v7
	;; [unrolled: 2-line block ×3, first 2 shown]
	v_mov_b32_e32 v13, v6
	v_lshl_add_u64 v[10:11], v[12:13], 0, v[10:11]
	v_add_co_u32_e32 v10, vcc, v10, v16
	v_mul_hi_u32 v14, v5, v7
	s_nop 0
	v_addc_co_u32_e32 v10, vcc, v11, v15, vcc
	v_mul_lo_u32 v12, v5, v7
	s_nop 0
	v_addc_co_u32_e32 v13, vcc, 0, v14, vcc
	v_mov_b32_e32 v11, v6
	v_lshl_add_u64 v[10:11], v[10:11], 0, v[12:13]
	v_add_co_u32_e32 v1, vcc, v1, v10
	v_mul_hi_u32 v12, v8, v1
	s_nop 0
	v_addc_co_u32_e32 v5, vcc, v5, v11, vcc
	v_mad_u64_u32 v[10:11], s[2:3], v8, v5, 0
	v_mov_b32_e32 v13, v6
	v_lshl_add_u64 v[10:11], v[12:13], 0, v[10:11]
	v_mad_u64_u32 v[14:15], s[2:3], v9, v1, 0
	v_add_co_u32_e32 v1, vcc, v10, v14
	v_mad_u64_u32 v[12:13], s[2:3], v9, v5, 0
	s_nop 0
	v_addc_co_u32_e32 v10, vcc, v11, v15, vcc
	v_mov_b32_e32 v11, v6
	s_nop 0
	v_addc_co_u32_e32 v13, vcc, 0, v13, vcc
	v_lshl_add_u64 v[10:11], v[10:11], 0, v[12:13]
	v_mul_lo_u32 v1, s25, v10
	v_mul_lo_u32 v5, s24, v11
	v_mad_u64_u32 v[12:13], s[2:3], s24, v10, 0
	v_add3_u32 v1, v13, v5, v1
	v_sub_u32_e32 v5, v9, v1
	v_mov_b32_e32 v7, s25
	v_sub_co_u32_e32 v16, vcc, v8, v12
	v_lshl_add_u64 v[14:15], v[10:11], 0, 1
	s_nop 0
	v_subb_co_u32_e64 v5, s[2:3], v5, v7, vcc
	v_subrev_co_u32_e64 v7, s[2:3], s24, v16
	v_subb_co_u32_e32 v1, vcc, v9, v1, vcc
	s_nop 0
	v_subbrev_co_u32_e64 v5, s[2:3], 0, v5, s[2:3]
	v_cmp_le_u32_e64 s[2:3], s25, v5
	v_cmp_le_u32_e32 vcc, s25, v1
	s_nop 0
	v_cndmask_b32_e64 v12, 0, -1, s[2:3]
	v_cmp_le_u32_e64 s[2:3], s24, v7
	s_nop 1
	v_cndmask_b32_e64 v7, 0, -1, s[2:3]
	v_cmp_eq_u32_e64 s[2:3], s25, v5
	s_nop 1
	v_cndmask_b32_e64 v5, v12, v7, s[2:3]
	v_lshl_add_u64 v[12:13], v[10:11], 0, 2
	v_cmp_ne_u32_e64 s[2:3], 0, v5
	v_cndmask_b32_e64 v7, 0, -1, vcc
	v_cmp_le_u32_e32 vcc, s24, v16
	v_cndmask_b32_e64 v5, v15, v13, s[2:3]
	s_nop 0
	v_cndmask_b32_e64 v13, 0, -1, vcc
	v_cmp_eq_u32_e32 vcc, s25, v1
	s_nop 1
	v_cndmask_b32_e32 v1, v7, v13, vcc
	v_cmp_ne_u32_e32 vcc, 0, v1
	v_cndmask_b32_e64 v1, v14, v12, s[2:3]
	s_nop 0
	v_cndmask_b32_e32 v39, v11, v5, vcc
	v_cndmask_b32_e32 v38, v10, v1, vcc
.LBB0_4:                                ;   in Loop: Header=BB0_2 Depth=1
	s_andn2_saveexec_b64 s[2:3], s[26:27]
	s_cbranch_execz .LBB0_6
; %bb.5:                                ;   in Loop: Header=BB0_2 Depth=1
	v_cvt_f32_u32_e32 v1, s24
	s_sub_i32 s26, 0, s24
	v_mov_b32_e32 v39, v6
	v_rcp_iflag_f32_e32 v1, v1
	s_nop 0
	v_mul_f32_e32 v1, 0x4f7ffffe, v1
	v_cvt_u32_f32_e32 v1, v1
	v_mul_lo_u32 v5, s26, v1
	v_mul_hi_u32 v5, v1, v5
	v_add_u32_e32 v1, v1, v5
	v_mul_hi_u32 v1, v8, v1
	v_mul_lo_u32 v5, v1, s24
	v_sub_u32_e32 v5, v8, v5
	v_add_u32_e32 v7, 1, v1
	v_subrev_u32_e32 v10, s24, v5
	v_cmp_le_u32_e32 vcc, s24, v5
	s_nop 1
	v_cndmask_b32_e32 v5, v5, v10, vcc
	v_cndmask_b32_e32 v1, v1, v7, vcc
	v_add_u32_e32 v7, 1, v1
	v_cmp_le_u32_e32 vcc, s24, v5
	s_nop 1
	v_cndmask_b32_e32 v38, v1, v7, vcc
.LBB0_6:                                ;   in Loop: Header=BB0_2 Depth=1
	s_or_b64 exec, exec, s[2:3]
	v_mad_u64_u32 v[10:11], s[2:3], v38, s24, 0
	s_load_dwordx2 s[2:3], s[18:19], 0x0
	s_add_u32 s22, s22, 1
	v_mul_lo_u32 v1, v39, s24
	v_mul_lo_u32 v5, v38, s25
	s_load_dwordx2 s[24:25], s[16:17], 0x0
	s_addc_u32 s23, s23, 0
	v_add3_u32 v1, v11, v5, v1
	v_sub_co_u32_e32 v5, vcc, v8, v10
	s_add_u32 s16, s16, 8
	s_nop 0
	v_subb_co_u32_e32 v1, vcc, v9, v1, vcc
	s_addc_u32 s17, s17, 0
	s_waitcnt lgkmcnt(0)
	v_mul_lo_u32 v7, s2, v1
	v_mul_lo_u32 v8, s3, v5
	v_mad_u64_u32 v[2:3], s[2:3], s2, v5, v[2:3]
	s_add_u32 s18, s18, 8
	v_add3_u32 v3, v8, v3, v7
	s_addc_u32 s19, s19, 0
	v_mov_b64_e32 v[8:9], s[10:11]
	v_mul_lo_u32 v1, s24, v1
	v_mul_lo_u32 v7, s25, v5
	v_mad_u64_u32 v[36:37], s[2:3], s24, v5, v[36:37]
	s_add_u32 s20, s20, 8
	v_cmp_ge_u64_e32 vcc, s[22:23], v[8:9]
	v_add3_u32 v37, v7, v37, v1
	s_addc_u32 s21, s21, 0
	s_cbranch_vccnz .LBB0_8
; %bb.7:                                ;   in Loop: Header=BB0_2 Depth=1
	v_mov_b64_e32 v[8:9], v[38:39]
	s_branch .LBB0_2
.LBB0_8:
	s_load_dwordx2 s[2:3], s[0:1], 0x28
	s_mov_b32 s0, 0xaaaaaaab
	v_mul_hi_u32 v1, v4, s0
	s_lshl_b64 s[16:17], s[10:11], 3
	v_lshrrev_b32_e32 v1, 1, v1
	s_add_u32 s10, s14, s16
	v_lshl_add_u32 v1, v1, 1, v1
	s_addc_u32 s11, s15, s17
	v_sub_u32_e32 v1, v4, v1
	s_waitcnt lgkmcnt(0)
	v_cmp_gt_u64_e64 s[0:1], s[2:3], v[38:39]
	v_cmp_le_u64_e32 vcc, s[2:3], v[38:39]
                                        ; implicit-def: $vgpr40
	s_and_saveexec_b64 s[2:3], vcc
	s_xor_b64 s[2:3], exec, s[2:3]
; %bb.9:
	s_mov_b32 s14, 0x3c3c3c4
	v_mul_hi_u32 v2, v0, s14
	v_mul_u32_u24_e32 v2, 0x44, v2
	v_sub_u32_e32 v40, v0, v2
                                        ; implicit-def: $vgpr0
                                        ; implicit-def: $vgpr2_vgpr3
; %bb.10:
	s_or_saveexec_b64 s[2:3], s[2:3]
	s_load_dwordx2 s[10:11], s[10:11], 0x0
	v_mul_u32_u24_e32 v4, 0x2a9, v1
	v_lshlrev_b32_e32 v203, 3, v4
	s_xor_b64 exec, exec, s[2:3]
	s_cbranch_execz .LBB0_14
; %bb.11:
	s_add_u32 s12, s12, s16
	s_addc_u32 s13, s13, s17
	s_load_dwordx2 s[12:13], s[12:13], 0x0
	s_mov_b32 s14, 0x3c3c3c4
	s_waitcnt lgkmcnt(0)
	v_mul_lo_u32 v1, s13, v38
	v_mul_lo_u32 v5, s12, v39
	v_mad_u64_u32 v[6:7], s[12:13], s12, v38, 0
	v_add3_u32 v7, v7, v5, v1
	v_mul_hi_u32 v1, v0, s14
	v_mul_u32_u24_e32 v1, 0x44, v1
	v_sub_u32_e32 v40, v0, v1
	v_lshl_add_u64 v[0:1], v[6:7], 3, s[4:5]
	v_lshl_add_u64 v[0:1], v[2:3], 3, v[0:1]
	v_lshlrev_b32_e32 v2, 3, v40
	v_mov_b32_e32 v3, 0
	v_lshl_add_u64 v[6:7], v[0:1], 0, v[2:3]
	global_load_dwordx2 v[8:9], v[6:7], off
	global_load_dwordx2 v[10:11], v[6:7], off offset:544
	global_load_dwordx2 v[12:13], v[6:7], off offset:1088
	;; [unrolled: 1-line block ×7, first 2 shown]
	v_add_co_u32_e32 v6, vcc, 0x1000, v6
	s_movk_i32 s4, 0x43
	s_nop 0
	v_addc_co_u32_e32 v7, vcc, 0, v7, vcc
	global_load_dwordx2 v[24:25], v[6:7], off offset:256
	global_load_dwordx2 v[26:27], v[6:7], off offset:800
	v_add3_u32 v2, 0, v203, v2
	v_cmp_eq_u32_e32 vcc, s4, v40
	v_add_u32_e32 v3, 0x800, v2
	v_add_u32_e32 v5, 0x1000, v2
	s_waitcnt vmcnt(8)
	ds_write2_b64 v2, v[8:9], v[10:11] offset1:68
	s_waitcnt vmcnt(6)
	ds_write2_b64 v2, v[12:13], v[14:15] offset0:136 offset1:204
	s_waitcnt vmcnt(4)
	ds_write2_b64 v3, v[16:17], v[18:19] offset0:16 offset1:84
	;; [unrolled: 2-line block ×4, first 2 shown]
	s_and_saveexec_b64 s[4:5], vcc
	s_cbranch_execz .LBB0_13
; %bb.12:
	v_add_co_u32_e32 v0, vcc, 0x1000, v0
	v_mov_b32_e32 v40, 0x43
	s_nop 0
	v_addc_co_u32_e32 v1, vcc, 0, v1, vcc
	global_load_dwordx2 v[0:1], v[0:1], off offset:1344
	s_waitcnt vmcnt(0)
	ds_write_b64 v2, v[0:1] offset:4904
.LBB0_13:
	s_or_b64 exec, exec, s[4:5]
.LBB0_14:
	s_or_b64 exec, exec, s[2:3]
	v_lshl_add_u32 v202, v4, 3, 0
	v_lshlrev_b32_e32 v5, 3, v40
	v_add_u32_e32 v204, v202, v5
	s_waitcnt lgkmcnt(0)
	s_barrier
	v_sub_u32_e32 v4, v202, v5
	ds_read_b32 v1, v204
	ds_read_b32 v2, v4 offset:5440
	s_add_u32 s2, s8, 0x14b8
	s_addc_u32 s3, s9, 0
	v_cmp_ne_u32_e32 vcc, 0, v40
	s_waitcnt lgkmcnt(0)
	v_add_f32_e32 v0, v2, v1
	v_sub_f32_e32 v1, v1, v2
                                        ; implicit-def: $vgpr2_vgpr3
	s_and_saveexec_b64 s[4:5], vcc
	s_xor_b64 s[4:5], exec, s[4:5]
	s_cbranch_execz .LBB0_16
; %bb.15:
	v_mov_b32_e32 v41, 0
	v_lshl_add_u64 v[2:3], v[40:41], 3, s[2:3]
	global_load_dwordx2 v[6:7], v[2:3], off
	ds_read_b32 v11, v4 offset:5444
	ds_read_b32 v12, v204 offset:4
	v_mov_b32_e32 v8, v1
	v_mov_b32_e32 v10, v0
	v_mov_b32_e32 v13, v1
	v_mov_b64_e32 v[2:3], v[40:41]
	s_waitcnt lgkmcnt(0)
	v_add_f32_e32 v9, v11, v12
	v_sub_f32_e32 v11, v12, v11
	v_mov_b32_e32 v12, v9
	s_waitcnt vmcnt(0)
	v_pk_mul_f32 v[14:15], v[8:9], v[6:7] op_sel:[0,1]
	v_pk_fma_f32 v[8:9], v[8:9], v[6:7], v[10:11] op_sel:[0,1,0]
	v_mov_b32_e32 v1, v15
	v_mov_b32_e32 v15, v11
	v_pk_fma_f32 v[16:17], v[6:7], v[12:13], v[8:9] neg_lo:[1,0,0] neg_hi:[1,0,0]
	v_pk_fma_f32 v[8:9], v[6:7], v[12:13], v[8:9] op_sel_hi:[0,1,1]
	v_pk_add_f32 v[0:1], v[0:1], v[14:15] neg_lo:[0,1] neg_hi:[0,1]
	v_mov_b32_e32 v17, v9
	v_pk_fma_f32 v[0:1], v[6:7], v[12:13], v[0:1] op_sel_hi:[0,1,1]
	ds_write_b64 v4, v[0:1] offset:5440
	v_mov_b64_e32 v[0:1], v[16:17]
.LBB0_16:
	s_andn2_saveexec_b64 s[4:5], s[4:5]
	s_cbranch_execz .LBB0_18
; %bb.17:
	ds_read_b64 v[2:3], v202 offset:2720
	s_mov_b32 s12, 2.0
	s_mov_b32 s13, -2.0
	s_waitcnt lgkmcnt(0)
	v_pk_mul_f32 v[2:3], v[2:3], s[12:13]
	ds_write_b64 v202, v[2:3] offset:2720
	v_mov_b64_e32 v[2:3], 0
.LBB0_18:
	s_or_b64 exec, exec, s[4:5]
	v_lshl_add_u64 v[2:3], v[2:3], 3, s[2:3]
	global_load_dwordx2 v[6:7], v[2:3], off offset:544
	global_load_dwordx2 v[8:9], v[2:3], off offset:1088
	;; [unrolled: 1-line block ×4, first 2 shown]
	ds_write_b64 v204, v[0:1]
	ds_read_b64 v[0:1], v4 offset:4896
	ds_read_b64 v[2:3], v204 offset:544
	v_add3_u32 v41, 0, v5, v203
	v_add_u32_e32 v78, 0x1000, v41
	s_mov_b32 s24, 0xbe3c28d5
	s_mov_b32 s22, 0xbf763a35
	s_waitcnt lgkmcnt(0)
	v_pk_add_f32 v[14:15], v[2:3], v[0:1]
	v_pk_add_f32 v[0:1], v[2:3], v[0:1] neg_lo:[0,1] neg_hi:[0,1]
	v_mov_b32_e32 v2, v15
	v_mov_b32_e32 v3, v0
	;; [unrolled: 1-line block ×3, first 2 shown]
	s_mov_b32 s26, 0xbf4c4adb
	s_mov_b32 s25, 0xbf2c7751
	;; [unrolled: 1-line block ×29, first 2 shown]
	v_cmp_lt_u32_e32 vcc, 39, v40
	s_waitcnt vmcnt(3)
	v_pk_mul_f32 v[16:17], v[2:3], v[6:7] op_sel:[0,1]
	s_nop 0
	v_pk_add_f32 v[18:19], v[14:15], v[16:17] op_sel:[0,1] op_sel_hi:[1,0]
	v_mov_b32_e32 v15, v16
	v_mov_b32_e32 v0, v17
	v_pk_fma_f32 v[16:17], v[6:7], v[2:3], v[18:19] neg_lo:[1,0,0] neg_hi:[1,0,0]
	v_pk_fma_f32 v[18:19], v[6:7], v[2:3], v[18:19] op_sel_hi:[0,1,1]
	v_pk_add_f32 v[0:1], v[14:15], v[0:1] neg_lo:[0,1] neg_hi:[0,1]
	v_mov_b32_e32 v17, v19
	v_pk_fma_f32 v[0:1], v[6:7], v[2:3], v[0:1] op_sel_hi:[0,1,1]
	ds_write_b64 v204, v[16:17] offset:544
	ds_write_b64 v4, v[0:1] offset:4896
	ds_read_b64 v[0:1], v4 offset:4352
	ds_read_b64 v[2:3], v204 offset:1088
	s_waitcnt lgkmcnt(0)
	v_pk_add_f32 v[6:7], v[2:3], v[0:1]
	v_pk_add_f32 v[0:1], v[2:3], v[0:1] neg_lo:[0,1] neg_hi:[0,1]
	v_mov_b32_e32 v2, v7
	v_mov_b32_e32 v3, v0
	;; [unrolled: 1-line block ×3, first 2 shown]
	s_waitcnt vmcnt(2)
	v_pk_mul_f32 v[14:15], v[2:3], v[8:9] op_sel:[0,1]
	s_nop 0
	v_pk_add_f32 v[16:17], v[6:7], v[14:15] op_sel:[0,1] op_sel_hi:[1,0]
	v_mov_b32_e32 v7, v14
	v_mov_b32_e32 v0, v15
	v_pk_fma_f32 v[14:15], v[8:9], v[2:3], v[16:17] neg_lo:[1,0,0] neg_hi:[1,0,0]
	v_pk_fma_f32 v[16:17], v[8:9], v[2:3], v[16:17] op_sel_hi:[0,1,1]
	v_pk_add_f32 v[0:1], v[6:7], v[0:1] neg_lo:[0,1] neg_hi:[0,1]
	v_mov_b32_e32 v15, v17
	v_pk_fma_f32 v[0:1], v[8:9], v[2:3], v[0:1] op_sel_hi:[0,1,1]
	ds_write_b64 v204, v[14:15] offset:1088
	ds_write_b64 v4, v[0:1] offset:4352
	ds_read_b64 v[0:1], v4 offset:3808
	ds_read_b64 v[2:3], v204 offset:1632
	s_waitcnt lgkmcnt(0)
	v_pk_add_f32 v[6:7], v[2:3], v[0:1]
	v_pk_add_f32 v[0:1], v[2:3], v[0:1] neg_lo:[0,1] neg_hi:[0,1]
	v_mov_b32_e32 v2, v7
	v_mov_b32_e32 v3, v0
	v_mov_b32_e32 v7, v1
	s_waitcnt vmcnt(1)
	v_pk_mul_f32 v[8:9], v[2:3], v[10:11] op_sel:[0,1]
	s_nop 0
	v_pk_add_f32 v[14:15], v[6:7], v[8:9] op_sel:[0,1] op_sel_hi:[1,0]
	v_mov_b32_e32 v7, v8
	v_mov_b32_e32 v0, v9
	v_pk_fma_f32 v[8:9], v[10:11], v[2:3], v[14:15] neg_lo:[1,0,0] neg_hi:[1,0,0]
	v_pk_fma_f32 v[14:15], v[10:11], v[2:3], v[14:15] op_sel_hi:[0,1,1]
	v_pk_add_f32 v[0:1], v[6:7], v[0:1] neg_lo:[0,1] neg_hi:[0,1]
	v_mov_b32_e32 v9, v15
	v_pk_fma_f32 v[0:1], v[10:11], v[2:3], v[0:1] op_sel_hi:[0,1,1]
	ds_write_b64 v204, v[8:9] offset:1632
	ds_write_b64 v4, v[0:1] offset:3808
	ds_read_b64 v[0:1], v4 offset:3264
	ds_read_b64 v[2:3], v204 offset:2176
	v_add_u32_e32 v14, 0x800, v41
	s_waitcnt lgkmcnt(0)
	v_pk_add_f32 v[6:7], v[2:3], v[0:1]
	v_pk_add_f32 v[0:1], v[2:3], v[0:1] neg_lo:[0,1] neg_hi:[0,1]
	v_mov_b32_e32 v2, v7
	v_mov_b32_e32 v3, v0
	v_mov_b32_e32 v7, v1
	s_waitcnt vmcnt(0)
	v_pk_mul_f32 v[8:9], v[2:3], v[12:13] op_sel:[0,1]
	s_nop 0
	v_pk_add_f32 v[10:11], v[6:7], v[8:9] op_sel:[0,1] op_sel_hi:[1,0]
	v_mov_b32_e32 v7, v8
	v_mov_b32_e32 v0, v9
	v_pk_fma_f32 v[8:9], v[12:13], v[2:3], v[10:11] neg_lo:[1,0,0] neg_hi:[1,0,0]
	v_pk_fma_f32 v[10:11], v[12:13], v[2:3], v[10:11] op_sel_hi:[0,1,1]
	v_pk_add_f32 v[0:1], v[6:7], v[0:1] neg_lo:[0,1] neg_hi:[0,1]
	v_mov_b32_e32 v9, v11
	v_pk_fma_f32 v[0:1], v[12:13], v[2:3], v[0:1] op_sel_hi:[0,1,1]
	ds_write_b64 v204, v[8:9] offset:2176
	ds_write_b64 v4, v[0:1] offset:3264
	s_waitcnt lgkmcnt(0)
	s_barrier
	s_barrier
	ds_read2_b64 v[8:11], v41 offset0:200 offset1:240
	ds_read2_b64 v[4:7], v14 offset0:184 offset1:224
	;; [unrolled: 1-line block ×6, first 2 shown]
	s_waitcnt lgkmcnt(4)
	v_pk_add_f32 v[66:67], v[6:7], v[8:9]
	v_pk_add_f32 v[0:1], v[8:9], v[6:7] neg_lo:[0,1] neg_hi:[0,1]
	v_pk_add_f32 v[64:65], v[4:5], v[10:11]
	s_waitcnt lgkmcnt(1)
	v_pk_add_f32 v[28:29], v[16:17], v[22:23] neg_lo:[0,1] neg_hi:[0,1]
	v_pk_add_f32 v[30:31], v[18:19], v[20:21] neg_lo:[0,1] neg_hi:[0,1]
	;; [unrolled: 1-line block ×3, first 2 shown]
	v_mul_f32_e32 v71, 0xbe3c28d5, v29
	v_mul_f32_e32 v51, 0x3f2c7751, v29
	v_mul_f32_e32 v70, 0x3f65296c, v31
	v_mul_f32_e32 v58, 0xbf763a35, v31
	v_pk_mul_f32 v[76:77], v[28:29], s[20:21] op_sel_hi:[0,1]
	v_pk_mul_f32 v[68:69], v[30:31], s[22:23] op_sel_hi:[0,1]
	v_mov_b32_e32 v86, v66
	v_mov_b32_e32 v87, v0
	;; [unrolled: 1-line block ×6, first 2 shown]
	ds_read_b64 v[46:47], v204
	ds_read2_b64 v[32:35], v41 offset0:120 offset1:160
	ds_read2_b64 v[28:31], v78 offset0:8 offset1:48
	s_waitcnt lgkmcnt(3)
	v_pk_add_f32 v[92:93], v[24:25], v[14:15] neg_lo:[0,1] neg_hi:[0,1]
	v_pk_add_f32 v[62:63], v[22:23], v[16:17]
	v_pk_mul_f32 v[118:119], v[86:87], s[18:19]
	v_mov_b32_e32 v96, v64
	v_mov_b32_e32 v97, v2
	s_mov_b32 s18, s5
	s_mov_b32 s19, s23
	v_pk_add_f32 v[78:79], v[14:15], v[24:25]
	v_mul_f32_e32 v207, 0xbf06c442, v93
	v_pk_add_f32 v[60:61], v[20:21], v[18:19]
	v_pk_mul_f32 v[74:75], v[2:3], s[24:25] op_sel_hi:[0,1]
	v_pk_mul_f32 v[124:125], v[96:97], s[18:19]
	v_mov_b32_e32 v88, v62
	s_mov_b32 s18, s4
	s_mov_b32 s19, s22
	v_fmamk_f32 v2, v78, 0xbf59a7d5, v207
	v_mul_f32_e32 v205, 0xbf2c7751, v3
	v_mul_f32_e32 v55, 0xbe3c28d5, v3
	v_mov_b32_e32 v48, v3
	v_pk_mul_f32 v[130:131], v[88:89], s[18:19]
	v_mov_b32_e32 v90, v60
	s_mov_b32 s18, s3
	s_mov_b32 s19, s17
	s_waitcnt lgkmcnt(2)
	v_add_f32_e32 v98, v46, v2
	v_pk_mul_f32 v[2:3], v[92:93], s[24:25] op_sel_hi:[1,0]
	v_mov_b32_e32 v57, v61
	v_pk_mul_f32 v[136:137], v[90:91], s[18:19]
	v_pk_fma_f32 v[82:83], v[78:79], s[12:13], v[2:3] op_sel:[0,0,1] op_sel_hi:[1,0,0]
	v_pk_fma_f32 v[2:3], v[78:79], s[12:13], v[2:3] op_sel:[0,0,1] op_sel_hi:[1,0,0] neg_lo:[0,0,1] neg_hi:[0,0,1]
	v_mul_f32_e32 v206, 0x3f7ee86f, v1
	v_mul_f32_e32 v59, 0xbeb8f4ab, v1
	v_pk_mul_f32 v[72:73], v[0:1], s[16:17] op_sel_hi:[0,1]
	v_mov_b32_e32 v44, v1
	v_pk_fma_f32 v[0:1], v[56:57], s[34:35], v[136:137] neg_lo:[1,0,0] neg_hi:[1,0,0]
	v_mul_f32_e32 v210, 0xbf4c4adb, v93
	v_mov_b32_e32 v80, v82
	v_mov_b32_e32 v81, v3
	v_pk_add_f32 v[94:95], v[26:27], v[12:13] neg_lo:[0,1] neg_hi:[0,1]
	v_fmamk_f32 v1, v78, 0xbf1a4643, v210
	v_pk_add_f32 v[84:85], v[46:47], v[80:81]
	v_pk_add_f32 v[80:81], v[12:13], v[26:27]
	v_mul_f32_e32 v212, 0x3f763a35, v95
	v_add_f32_e32 v1, v46, v1
	v_fmamk_f32 v3, v80, 0xbe8c1d8e, v212
	v_mul_f32_e32 v208, 0x3f65296c, v95
	v_add_f32_e32 v1, v3, v1
	v_fmamk_f32 v3, v80, 0x3ee437d1, v208
	s_mov_b32 s22, 0x3eb8f4ab
	v_add_f32_e32 v104, v3, v98
	v_pk_mul_f32 v[98:99], v[94:95], s[22:23] op_sel_hi:[1,0]
	v_mov_b32_e32 v3, v83
	v_pk_fma_f32 v[82:83], v[80:81], s[2:3], v[98:99] op_sel:[0,0,1] op_sel_hi:[1,0,0] neg_lo:[0,0,1] neg_hi:[0,0,1]
	v_pk_fma_f32 v[98:99], v[80:81], s[2:3], v[98:99] op_sel:[0,0,1] op_sel_hi:[1,0,0]
	v_pk_add_f32 v[2:3], v[46:47], v[2:3]
	v_mov_b32_e32 v100, v82
	v_mov_b32_e32 v101, v99
	;; [unrolled: 1-line block ×3, first 2 shown]
	v_pk_add_f32 v[138:139], v[100:101], v[2:3]
	v_pk_add_f32 v[2:3], v[98:99], v[84:85]
	s_waitcnt lgkmcnt(0)
	v_pk_add_f32 v[98:99], v[32:33], v[30:31] neg_lo:[0,1] neg_hi:[0,1]
	v_pk_add_f32 v[82:83], v[30:31], v[32:33]
	v_mul_f32_e32 v213, 0xbeb8f4ab, v99
	v_fmamk_f32 v84, v82, 0x3f6eb680, v213
	v_mul_f32_e32 v209, 0xbf7ee86f, v99
	v_add_f32_e32 v1, v84, v1
	v_fmamk_f32 v84, v82, 0x3dbcf732, v209
	s_mov_b32 s18, 0xbf59a7d5
	v_add_f32_e32 v100, v84, v104
	v_pk_mul_f32 v[84:85], v[98:99], s[36:37] op_sel_hi:[1,0]
	v_pk_add_f32 v[104:105], v[34:35], v[28:29] neg_lo:[0,1] neg_hi:[0,1]
	v_pk_fma_f32 v[140:141], v[82:83], s[18:19], v[84:85] op_sel:[0,0,1] op_sel_hi:[1,0,0] neg_lo:[0,0,1] neg_hi:[0,0,1]
	v_pk_fma_f32 v[142:143], v[82:83], s[18:19], v[84:85] op_sel:[0,0,1] op_sel_hi:[1,0,0]
	v_mov_b32_e32 v85, v141
	v_mov_b32_e32 v84, v142
	v_pk_add_f32 v[2:3], v[84:85], v[2:3]
	v_pk_add_f32 v[84:85], v[28:29], v[34:35]
	v_mul_f32_e32 v214, 0xbf06c442, v105
	v_fmamk_f32 v101, v84, 0xbf59a7d5, v214
	v_mul_f32_e32 v211, 0x3f4c4adb, v105
	v_add_f32_e32 v1, v101, v1
	v_fmamk_f32 v101, v84, 0xbf1a4643, v211
	v_add_f32_e32 v109, v101, v100
	s_mov_b32 s22, s13
	v_pk_mul_f32 v[100:101], v[104:105], s[20:21] op_sel_hi:[1,0]
	v_fmamk_f32 v103, v66, 0x3f6eb680, v59
	v_pk_fma_f32 v[144:145], v[84:85], s[22:23], v[100:101] op_sel:[0,0,1] op_sel_hi:[1,0,0] neg_lo:[0,0,1] neg_hi:[0,0,1]
	v_pk_fma_f32 v[146:147], v[84:85], s[22:23], v[100:101] op_sel:[0,0,1] op_sel_hi:[1,0,0]
	v_mov_b32_e32 v45, v67
	v_mov_b32_e32 v100, v146
	;; [unrolled: 1-line block ×3, first 2 shown]
	s_mov_b32 s37, s26
	v_fmamk_f32 v102, v66, 0x3dbcf732, v206
	v_fmamk_f32 v107, v64, 0xbf7ba420, v55
	v_pk_fma_f32 v[120:121], v[44:45], s[26:27], v[118:119] neg_lo:[1,0,0] neg_hi:[1,0,0]
	v_pk_fma_f32 v[122:123], v[44:45], s[26:27], v[118:119]
	s_mov_b32 s25, 0x3f763a35
	v_pk_add_f32 v[148:149], v[100:101], v[2:3]
	v_add_f32_e32 v2, v103, v109
	s_mov_b32 s19, s27
	v_pk_mul_f32 v[100:101], v[92:93], s[36:37] op_sel_hi:[0,1]
	s_mov_b32 s24, s23
	v_fmamk_f32 v106, v64, 0x3f3d2fb0, v205
	v_mov_b32_e32 v121, v123
	v_add_f32_e32 v1, v102, v1
	v_add_f32_e32 v123, v107, v2
	v_pk_fma_f32 v[2:3], v[78:79], s[18:19], v[100:101] op_sel:[1,0,0] neg_lo:[0,0,1] neg_hi:[0,0,1]
	s_mov_b32 s20, s5
	s_mov_b32 s21, s4
	v_pk_mul_f32 v[102:103], v[94:95], s[24:25] op_sel_hi:[0,1]
	v_add_f32_e32 v1, v106, v1
	v_pk_add_f32 v[2:3], v[46:47], v[2:3] op_sel:[1,0]
	v_pk_fma_f32 v[106:107], v[80:81], s[20:21], v[102:103] op_sel:[1,0,0] neg_lo:[0,0,1] neg_hi:[0,0,1]
	v_fmamk_f32 v108, v62, 0xbf7ba420, v71
	v_pk_add_f32 v[2:3], v[106:107], v[2:3]
	s_mov_b32 s22, s3
	s_mov_b32 s23, s2
	v_pk_mul_f32 v[106:107], v[98:99], s[38:39] op_sel_hi:[0,1]
	v_add_f32_e32 v114, v108, v1
	v_pk_fma_f32 v[108:109], v[82:83], s[22:23], v[106:107] op_sel:[1,0,0] neg_lo:[0,0,1] neg_hi:[0,0,1]
	s_mov_b32 s24, s27
	v_pk_add_f32 v[2:3], v[108:109], v[2:3]
	s_mov_b32 s25, s18
	v_pk_mul_f32 v[108:109], v[104:105], s[40:41] op_sel_hi:[0,1]
	v_pk_fma_f32 v[150:151], v[84:85], s[24:25], v[108:109] op_sel:[1,0,0] neg_lo:[0,0,1] neg_hi:[0,0,1]
	v_pk_fma_f32 v[42:43], v[66:67], s[2:3], v[72:73] op_sel:[1,0,0] neg_lo:[0,0,1] neg_hi:[0,0,1]
	v_pk_add_f32 v[150:151], v[150:151], v[2:3]
	v_pk_fma_f32 v[110:111], v[64:65], s[12:13], v[74:75] op_sel:[1,0,0] neg_lo:[0,0,1] neg_hi:[0,0,1]
	v_pk_add_f32 v[42:43], v[42:43], v[150:151]
	v_mov_b32_e32 v141, v143
	v_pk_fma_f32 v[112:113], v[62:63], s[14:15], v[76:77] op_sel:[1,0,0] neg_lo:[0,0,1] neg_hi:[0,0,1]
	v_mov_b32_e32 v49, v65
	v_pk_add_f32 v[42:43], v[110:111], v[42:43]
	v_pk_add_f32 v[110:111], v[140:141], v[138:139]
	v_mov_b32_e32 v145, v147
	v_fmamk_f32 v115, v62, 0x3f3d2fb0, v51
	v_pk_fma_f32 v[116:117], v[60:61], s[4:5], v[68:69] op_sel:[1,0,0] neg_lo:[0,0,1] neg_hi:[0,0,1]
	v_pk_fma_f32 v[126:127], v[48:49], s[28:29], v[124:125] neg_lo:[1,0,0] neg_hi:[1,0,0]
	v_pk_fma_f32 v[128:129], v[48:49], s[28:29], v[124:125]
	v_mov_b32_e32 v53, v63
	v_pk_add_f32 v[42:43], v[112:113], v[42:43]
	v_pk_add_f32 v[110:111], v[144:145], v[110:111]
	v_pk_fma_f32 v[112:113], v[44:45], s[26:27], v[118:119] neg_lo:[0,0,1] neg_hi:[0,0,1]
	v_mov_b32_e32 v127, v129
	v_pk_fma_f32 v[132:133], v[52:53], s[30:31], v[130:131] neg_lo:[1,0,0] neg_hi:[1,0,0]
	v_pk_fma_f32 v[134:135], v[52:53], s[30:31], v[130:131]
	v_add_f32_e32 v115, v115, v123
	v_pk_add_f32 v[42:43], v[116:117], v[42:43]
	v_pk_add_f32 v[110:111], v[120:121], v[110:111]
	v_mov_b32_e32 v123, v113
	v_pk_fma_f32 v[116:117], v[48:49], s[28:29], v[124:125] neg_lo:[0,0,1] neg_hi:[0,0,1]
	v_mov_b32_e32 v133, v135
	v_pk_add_f32 v[112:113], v[122:123], v[148:149]
	v_pk_add_f32 v[110:111], v[126:127], v[110:111]
	v_mov_b32_e32 v129, v117
	v_pk_add_f32 v[116:117], v[128:129], v[112:113]
	v_pk_add_f32 v[112:113], v[132:133], v[110:111]
	v_pk_fma_f32 v[110:111], v[52:53], s[30:31], v[130:131] neg_lo:[0,0,1] neg_hi:[0,0,1]
	v_pk_fma_f32 v[2:3], v[56:57], s[34:35], v[136:137]
	v_mov_b32_e32 v135, v111
	v_pk_add_f32 v[110:111], v[134:135], v[116:117]
	v_pk_fma_f32 v[116:117], v[56:57], s[34:35], v[136:137] neg_lo:[0,0,1] neg_hi:[0,0,1]
	v_fmamk_f32 v50, v60, 0x3ee437d1, v70
	v_fmamk_f32 v54, v60, 0xbe8c1d8e, v58
	v_mov_b32_e32 v1, v3
	v_mov_b32_e32 v3, v117
	s_barrier
	s_and_saveexec_b64 s[16:17], vcc
	s_xor_b64 s[16:17], exec, s[16:17]
; %bb.19:
                                        ; implicit-def: $vgpr206
                                        ; implicit-def: $vgpr59
                                        ; implicit-def: $vgpr205
                                        ; implicit-def: $vgpr55
                                        ; implicit-def: $vgpr71
                                        ; implicit-def: $vgpr51
                                        ; implicit-def: $vgpr70
                                        ; implicit-def: $vgpr58
                                        ; implicit-def: $vgpr72_vgpr73
                                        ; implicit-def: $vgpr74_vgpr75
                                        ; implicit-def: $vgpr76_vgpr77
                                        ; implicit-def: $vgpr68_vgpr69
                                        ; implicit-def: $vgpr46_vgpr47
                                        ; implicit-def: $vgpr78_vgpr79
                                        ; implicit-def: $vgpr92_vgpr93
                                        ; implicit-def: $vgpr210
                                        ; implicit-def: $vgpr207
                                        ; implicit-def: $vgpr80_vgpr81
                                        ; implicit-def: $vgpr94_vgpr95
                                        ; implicit-def: $vgpr212
                                        ; implicit-def: $vgpr208
                                        ; implicit-def: $vgpr82_vgpr83
                                        ; implicit-def: $vgpr98_vgpr99
                                        ; implicit-def: $vgpr213
                                        ; implicit-def: $vgpr209
                                        ; implicit-def: $vgpr84_vgpr85
                                        ; implicit-def: $vgpr104_vgpr105
                                        ; implicit-def: $vgpr214
                                        ; implicit-def: $vgpr211
                                        ; implicit-def: $vgpr100_vgpr101
                                        ; implicit-def: $vgpr102_vgpr103
                                        ; implicit-def: $vgpr106_vgpr107
                                        ; implicit-def: $vgpr108_vgpr109
                                        ; implicit-def: $vgpr66_vgpr67
                                        ; implicit-def: $vgpr64_vgpr65
                                        ; implicit-def: $vgpr62_vgpr63
                                        ; implicit-def: $vgpr60_vgpr61
                                        ; implicit-def: $vgpr90_vgpr91
                                        ; implicit-def: $vgpr56_vgpr57
                                        ; implicit-def: $vgpr88_vgpr89
                                        ; implicit-def: $vgpr52_vgpr53
                                        ; implicit-def: $vgpr96_vgpr97
                                        ; implicit-def: $vgpr48_vgpr49
                                        ; implicit-def: $vgpr86_vgpr87
                                        ; implicit-def: $vgpr44_vgpr45
                                        ; implicit-def: $vgpr24_vgpr25_vgpr26_vgpr27
                                        ; implicit-def: $vgpr32_vgpr33_vgpr34_vgpr35
                                        ; implicit-def: $vgpr8_vgpr9_vgpr10_vgpr11
                                        ; implicit-def: $vgpr16_vgpr17_vgpr18_vgpr19
                                        ; implicit-def: $vgpr20_vgpr21_vgpr22_vgpr23
                                        ; implicit-def: $vgpr4_vgpr5_vgpr6_vgpr7
                                        ; implicit-def: $vgpr28_vgpr29_vgpr30_vgpr31
                                        ; implicit-def: $vgpr12_vgpr13_vgpr14_vgpr15
; %bb.20:
	s_or_saveexec_b64 s[16:17], s[16:17]
	v_add_f32_e32 v50, v50, v114
	v_add_f32_e32 v54, v54, v115
	v_pk_add_f32 v[0:1], v[0:1], v[112:113]
	v_pk_add_f32 v[2:3], v[2:3], v[110:111]
	s_xor_b64 exec, exec, s[16:17]
	s_cbranch_execz .LBB0_22
; %bb.21:
	v_pk_add_f32 v[24:25], v[46:47], v[24:25]
	s_mov_b32 s50, 0x3f6eb680
	v_pk_add_f32 v[24:25], v[24:25], v[26:27]
	s_mov_b32 s51, 0xbeb8f4ab
	v_pk_add_f32 v[24:25], v[24:25], v[32:33]
	s_mov_b32 s44, s51
	v_pk_add_f32 v[24:25], v[24:25], v[34:35]
	s_mov_b32 s64, 0x3f3d2fb0
	v_pk_add_f32 v[8:9], v[24:25], v[8:9]
	s_mov_b32 s58, 0x3ee437d1
	v_pk_add_f32 v[8:9], v[8:9], v[10:11]
	s_mov_b32 s62, 0xbf59a7d5
	v_pk_add_f32 v[8:9], v[8:9], v[16:17]
	s_mov_b32 s65, 0x3f2c7751
	v_pk_add_f32 v[8:9], v[8:9], v[18:19]
	s_mov_b32 s59, 0xbf65296c
	v_pk_add_f32 v[8:9], v[8:9], v[20:21]
	s_mov_b32 s63, 0xbf06c442
	v_pk_add_f32 v[8:9], v[8:9], v[22:23]
	s_mov_b32 s67, 0x3f06c442
	v_pk_add_f32 v[4:5], v[8:9], v[4:5]
	s_mov_b32 s66, s62
	v_pk_add_f32 v[4:5], v[4:5], v[6:7]
	v_pk_mul_f32 v[6:7], v[92:93], s[44:45] op_sel_hi:[1,0]
	v_pk_add_f32 v[4:5], v[4:5], v[28:29]
	s_mov_b32 s44, 0xbf2c7751
	v_pk_add_f32 v[4:5], v[4:5], v[30:31]
	v_pk_mul_f32 v[10:11], v[94:95], s[44:45] op_sel_hi:[1,0]
	v_pk_add_f32 v[4:5], v[4:5], v[12:13]
	v_pk_mul_f32 v[118:119], v[86:87], s[66:67]
	v_pk_add_f32 v[28:29], v[4:5], v[14:15]
	v_pk_fma_f32 v[4:5], v[78:79], s[50:51], v[6:7] op_sel:[0,0,1] op_sel_hi:[1,0,0] neg_lo:[0,0,1] neg_hi:[0,0,1]
	v_pk_fma_f32 v[6:7], v[78:79], s[50:51], v[6:7] op_sel:[0,0,1] op_sel_hi:[1,0,0]
	v_mov_b32_e32 v8, v4
	v_mov_b32_e32 v9, v7
	v_pk_add_f32 v[12:13], v[46:47], v[8:9]
	v_pk_fma_f32 v[8:9], v[80:81], s[64:65], v[10:11] op_sel:[0,0,1] op_sel_hi:[1,0,0] neg_lo:[0,0,1] neg_hi:[0,0,1]
	v_pk_fma_f32 v[10:11], v[80:81], s[64:65], v[10:11] op_sel:[0,0,1] op_sel_hi:[1,0,0]
	v_mov_b32_e32 v14, v8
	v_mov_b32_e32 v15, v11
	s_mov_b32 s66, s59
	s_mov_b32 s49, 0x3f7ee86f
	;; [unrolled: 1-line block ×4, first 2 shown]
	v_pk_add_f32 v[16:17], v[14:15], v[12:13]
	v_pk_mul_f32 v[14:15], v[98:99], s[66:67] op_sel_hi:[1,0]
	v_pk_mul_f32 v[124:125], v[96:97], s[48:49]
	s_mov_b32 s42, s49
	s_mov_b32 s49, 0xbf7ee86f
	;; [unrolled: 1-line block ×5, first 2 shown]
	v_pk_fma_f32 v[12:13], v[82:83], s[58:59], v[14:15] op_sel:[0,0,1] op_sel_hi:[1,0,0] neg_lo:[0,0,1] neg_hi:[0,0,1]
	v_pk_fma_f32 v[14:15], v[82:83], s[58:59], v[14:15] op_sel:[0,0,1] op_sel_hi:[1,0,0]
	v_pk_mul_f32 v[114:115], v[86:87], s[70:71]
	v_mov_b32_e32 v18, v12
	v_mov_b32_e32 v19, v15
	s_mov_b32 s70, s49
	v_pk_add_f32 v[20:21], v[18:19], v[16:17]
	v_pk_mul_f32 v[18:19], v[104:105], s[70:71] op_sel_hi:[1,0]
	s_mov_b32 s35, 0x3f65296c
	s_mov_b32 s34, s58
	v_pk_fma_f32 v[16:17], v[84:85], s[48:49], v[18:19] op_sel:[0,0,1] op_sel_hi:[1,0,0] neg_lo:[0,0,1] neg_hi:[0,0,1]
	v_pk_fma_f32 v[18:19], v[84:85], s[48:49], v[18:19] op_sel:[0,0,1] op_sel_hi:[1,0,0]
	s_mov_b32 s52, 0xbf1a4643
	v_pk_mul_f32 v[122:123], v[88:89], s[34:35]
	s_mov_b32 s40, s35
	s_mov_b32 s34, s71
	;; [unrolled: 1-line block ×3, first 2 shown]
	v_mul_u32_u24_e32 v24, 0x88, v40
	v_mov_b32_e32 v22, v16
	v_mov_b32_e32 v23, v19
	s_mov_b32 s53, 0xbf4c4adb
	v_add3_u32 v215, 0, v24, v203
	v_pk_add_f32 v[22:23], v[22:23], v[20:21]
	v_pk_fma_f32 v[24:25], v[44:45], s[34:35], v[114:115] neg_lo:[1,0,0] neg_hi:[1,0,0]
	v_pk_fma_f32 v[20:21], v[44:45], s[34:35], v[114:115]
	s_mov_b32 s28, s53
	s_mov_b32 s29, s52
	v_pk_mul_f32 v[116:117], v[96:97], s[52:53]
	v_mov_b32_e32 v25, v21
	v_pk_add_f32 v[24:25], v[24:25], v[22:23]
	v_pk_fma_f32 v[26:27], v[48:49], s[28:29], v[116:117] neg_lo:[1,0,0] neg_hi:[1,0,0]
	v_pk_fma_f32 v[22:23], v[48:49], s[28:29], v[116:117]
	s_mov_b32 s46, 0xbf7ba420
	s_mov_b32 s30, s63
	;; [unrolled: 1-line block ×3, first 2 shown]
	v_pk_mul_f32 v[112:113], v[88:89], s[62:63]
	v_mov_b32_e32 v27, v23
	s_mov_b32 s47, 0xbe3c28d5
	v_pk_add_f32 v[26:27], v[26:27], v[24:25]
	v_pk_fma_f32 v[30:31], v[52:53], s[30:31], v[112:113] neg_lo:[1,0,0] neg_hi:[1,0,0]
	v_pk_fma_f32 v[24:25], v[52:53], s[30:31], v[112:113]
	s_mov_b32 s26, s47
	s_mov_b32 s27, s46
	v_pk_mul_f32 v[110:111], v[90:91], s[46:47]
	v_mov_b32_e32 v31, v25
	v_pk_add_f32 v[30:31], v[30:31], v[26:27]
	v_pk_fma_f32 v[32:33], v[56:57], s[26:27], v[110:111] neg_lo:[1,0,0] neg_hi:[1,0,0]
	v_pk_fma_f32 v[26:27], v[56:57], s[26:27], v[110:111]
	v_pk_mul_f32 v[34:35], v[94:95], s[70:71] op_sel_hi:[1,0]
	v_mov_b32_e32 v33, v27
	v_pk_add_f32 v[30:31], v[32:33], v[30:31]
	ds_write2_b64 v215, v[28:29], v[30:31] offset1:1
	v_pk_mul_f32 v[30:31], v[92:93], s[44:45] op_sel_hi:[1,0]
	s_mov_b32 s54, s53
	v_pk_fma_f32 v[28:29], v[78:79], s[64:65], v[30:31] op_sel:[0,0,1] op_sel_hi:[1,0,0] neg_lo:[0,0,1] neg_hi:[0,0,1]
	v_pk_fma_f32 v[30:31], v[78:79], s[64:65], v[30:31] op_sel:[0,0,1] op_sel_hi:[1,0,0]
	v_mov_b32_e32 v32, v28
	v_mov_b32_e32 v33, v31
	v_pk_add_f32 v[126:127], v[46:47], v[32:33]
	v_pk_fma_f32 v[32:33], v[80:81], s[48:49], v[34:35] op_sel:[0,0,1] op_sel_hi:[1,0,0] neg_lo:[0,0,1] neg_hi:[0,0,1]
	v_pk_fma_f32 v[34:35], v[80:81], s[48:49], v[34:35] op_sel:[0,0,1] op_sel_hi:[1,0,0]
	v_mov_b32_e32 v128, v32
	v_mov_b32_e32 v129, v35
	v_pk_add_f32 v[130:131], v[128:129], v[126:127]
	v_pk_mul_f32 v[128:129], v[98:99], s[54:55] op_sel_hi:[1,0]
	s_mov_b32 s74, s47
	v_pk_fma_f32 v[126:127], v[82:83], s[52:53], v[128:129] op_sel:[0,0,1] op_sel_hi:[1,0,0] neg_lo:[0,0,1] neg_hi:[0,0,1]
	v_pk_fma_f32 v[128:129], v[82:83], s[52:53], v[128:129] op_sel:[0,0,1] op_sel_hi:[1,0,0]
	v_mov_b32_e32 v132, v126
	v_mov_b32_e32 v133, v129
	v_pk_add_f32 v[134:135], v[132:133], v[130:131]
	v_pk_mul_f32 v[132:133], v[104:105], s[74:75] op_sel_hi:[1,0]
	s_mov_b32 s36, s67
	v_pk_fma_f32 v[130:131], v[84:85], s[46:47], v[132:133] op_sel:[0,0,1] op_sel_hi:[1,0,0] neg_lo:[0,0,1] neg_hi:[0,0,1]
	v_pk_fma_f32 v[132:133], v[84:85], s[46:47], v[132:133] op_sel:[0,0,1] op_sel_hi:[1,0,0]
	s_mov_b32 s37, s62
	v_mov_b32_e32 v136, v130
	v_mov_b32_e32 v137, v133
	v_pk_add_f32 v[136:137], v[136:137], v[134:135]
	v_pk_fma_f32 v[138:139], v[44:45], s[36:37], v[118:119] neg_lo:[1,0,0] neg_hi:[1,0,0]
	v_pk_fma_f32 v[134:135], v[44:45], s[36:37], v[118:119]
	v_pk_mul_f32 v[120:121], v[96:97], s[68:69]
	s_mov_b32 s38, s69
	s_mov_b32 s39, s68
	v_mov_b32_e32 v139, v135
	v_pk_add_f32 v[138:139], v[138:139], v[136:137]
	v_pk_fma_f32 v[140:141], v[48:49], s[38:39], v[120:121] neg_lo:[1,0,0] neg_hi:[1,0,0]
	v_pk_fma_f32 v[136:137], v[48:49], s[38:39], v[120:121]
	s_mov_b32 s41, s58
	v_mov_b32_e32 v141, v137
	v_pk_add_f32 v[140:141], v[140:141], v[138:139]
	v_pk_fma_f32 v[142:143], v[52:53], s[40:41], v[122:123] neg_lo:[1,0,0] neg_hi:[1,0,0]
	v_pk_fma_f32 v[138:139], v[52:53], s[40:41], v[122:123]
	s_mov_b32 s73, 0x3eb8f4ab
	s_mov_b32 s72, s50
	v_mov_b32_e32 v143, v139
	v_pk_add_f32 v[144:145], v[142:143], v[140:141]
	v_pk_mul_f32 v[142:143], v[90:91], s[72:73]
	s_mov_b32 s44, s73
	s_mov_b32 s45, s50
	v_pk_fma_f32 v[146:147], v[56:57], s[44:45], v[142:143] neg_lo:[1,0,0] neg_hi:[1,0,0]
	v_pk_fma_f32 v[140:141], v[56:57], s[44:45], v[142:143]
	v_pk_mul_f32 v[150:151], v[94:95], s[54:55] op_sel_hi:[1,0]
	v_mov_b32_e32 v147, v141
	v_pk_add_f32 v[176:177], v[146:147], v[144:145]
	v_pk_mul_f32 v[146:147], v[92:93], s[66:67] op_sel_hi:[1,0]
	s_mov_b32 s54, 0x3e3c28d5
	v_pk_fma_f32 v[144:145], v[78:79], s[58:59], v[146:147] op_sel:[0,0,1] op_sel_hi:[1,0,0] neg_lo:[0,0,1] neg_hi:[0,0,1]
	v_pk_fma_f32 v[146:147], v[78:79], s[58:59], v[146:147] op_sel:[0,0,1] op_sel_hi:[1,0,0]
	v_mov_b32_e32 v148, v144
	v_mov_b32_e32 v149, v147
	v_pk_add_f32 v[152:153], v[46:47], v[148:149]
	v_pk_fma_f32 v[148:149], v[80:81], s[52:53], v[150:151] op_sel:[0,0,1] op_sel_hi:[1,0,0] neg_lo:[0,0,1] neg_hi:[0,0,1]
	v_pk_fma_f32 v[150:151], v[80:81], s[52:53], v[150:151] op_sel:[0,0,1] op_sel_hi:[1,0,0]
	v_mov_b32_e32 v154, v148
	v_mov_b32_e32 v155, v151
	v_pk_add_f32 v[156:157], v[154:155], v[152:153]
	v_pk_mul_f32 v[154:155], v[98:99], s[54:55] op_sel_hi:[1,0]
	s_mov_b32 s72, s69
	v_pk_fma_f32 v[152:153], v[82:83], s[46:47], v[154:155] op_sel:[0,0,1] op_sel_hi:[1,0,0] neg_lo:[0,0,1] neg_hi:[0,0,1]
	v_pk_fma_f32 v[154:155], v[82:83], s[46:47], v[154:155] op_sel:[0,0,1] op_sel_hi:[1,0,0]
	v_mov_b32_e32 v158, v152
	v_mov_b32_e32 v159, v155
	v_pk_add_f32 v[160:161], v[158:159], v[156:157]
	v_pk_mul_f32 v[158:159], v[104:105], s[72:73] op_sel_hi:[1,0]
	s_mov_b32 s54, s65
	v_pk_fma_f32 v[156:157], v[84:85], s[68:69], v[158:159] op_sel:[0,0,1] op_sel_hi:[1,0,0] neg_lo:[0,0,1] neg_hi:[0,0,1]
	v_pk_fma_f32 v[158:159], v[84:85], s[68:69], v[158:159] op_sel:[0,0,1] op_sel_hi:[1,0,0]
	v_mov_b32_e32 v162, v156
	v_mov_b32_e32 v163, v159
	s_mov_b32 s55, s64
	v_pk_mul_f32 v[168:169], v[86:87], s[64:65]
	v_pk_add_f32 v[162:163], v[162:163], v[160:161]
	v_pk_fma_f32 v[164:165], v[44:45], s[54:55], v[168:169] neg_lo:[1,0,0] neg_hi:[1,0,0]
	v_pk_fma_f32 v[160:161], v[44:45], s[54:55], v[168:169]
	s_mov_b32 s56, s51
	v_mov_b32_e32 v165, v161
	s_mov_b32 s57, s50
	v_pk_mul_f32 v[170:171], v[96:97], s[50:51]
	v_pk_add_f32 v[164:165], v[164:165], v[162:163]
	v_pk_fma_f32 v[166:167], v[48:49], s[56:57], v[170:171] neg_lo:[1,0,0] neg_hi:[1,0,0]
	v_pk_fma_f32 v[162:163], v[48:49], s[56:57], v[170:171]
	s_mov_b32 s60, s49
	v_mov_b32_e32 v167, v163
	s_mov_b32 s61, s48
	v_pk_mul_f32 v[172:173], v[88:89], s[48:49]
	v_pk_add_f32 v[166:167], v[166:167], v[164:165]
	v_pk_fma_f32 v[174:175], v[52:53], s[60:61], v[172:173] neg_lo:[1,0,0] neg_hi:[1,0,0]
	v_pk_fma_f32 v[164:165], v[52:53], s[60:61], v[172:173]
	v_pk_mul_f32 v[182:183], v[94:95], s[74:75] op_sel_hi:[1,0]
	v_mov_b32_e32 v175, v165
	v_pk_add_f32 v[178:179], v[174:175], v[166:167]
	v_pk_mul_f32 v[174:175], v[90:91], s[62:63]
	v_pk_mul_f32 v[198:199], v[86:87], s[58:59]
	v_pk_fma_f32 v[180:181], v[56:57], s[30:31], v[174:175] neg_lo:[1,0,0] neg_hi:[1,0,0]
	v_pk_fma_f32 v[166:167], v[56:57], s[30:31], v[174:175]
	v_pk_mul_f32 v[200:201], v[96:97], s[62:63]
	v_mov_b32_e32 v181, v167
	v_pk_add_f32 v[178:179], v[180:181], v[178:179]
	ds_write2_b64 v215, v[176:177], v[178:179] offset0:2 offset1:3
	v_pk_mul_f32 v[178:179], v[92:93], s[70:71] op_sel_hi:[1,0]
	s_mov_b32 s70, s73
	v_pk_fma_f32 v[176:177], v[78:79], s[48:49], v[178:179] op_sel:[0,0,1] op_sel_hi:[1,0,0] neg_lo:[0,0,1] neg_hi:[0,0,1]
	v_pk_fma_f32 v[178:179], v[78:79], s[48:49], v[178:179] op_sel:[0,0,1] op_sel_hi:[1,0,0]
	v_mov_b32_e32 v180, v176
	v_mov_b32_e32 v181, v179
	v_pk_add_f32 v[184:185], v[46:47], v[180:181]
	v_pk_fma_f32 v[180:181], v[80:81], s[46:47], v[182:183] op_sel:[0,0,1] op_sel_hi:[1,0,0] neg_lo:[0,0,1] neg_hi:[0,0,1]
	v_pk_fma_f32 v[182:183], v[80:81], s[46:47], v[182:183] op_sel:[0,0,1] op_sel_hi:[1,0,0]
	v_mov_b32_e32 v186, v180
	v_mov_b32_e32 v187, v183
	v_pk_add_f32 v[188:189], v[186:187], v[184:185]
	v_pk_mul_f32 v[186:187], v[98:99], s[72:73] op_sel_hi:[1,0]
	s_mov_b32 s72, s59
	v_pk_fma_f32 v[184:185], v[82:83], s[68:69], v[186:187] op_sel:[0,0,1] op_sel_hi:[1,0,0] neg_lo:[0,0,1] neg_hi:[0,0,1]
	v_pk_fma_f32 v[186:187], v[82:83], s[68:69], v[186:187] op_sel:[0,0,1] op_sel_hi:[1,0,0]
	v_mov_b32_e32 v190, v184
	v_mov_b32_e32 v191, v187
	v_pk_add_f32 v[192:193], v[190:191], v[188:189]
	v_pk_mul_f32 v[190:191], v[104:105], s[70:71] op_sel_hi:[1,0]
	s_mov_b32 s73, s58
	v_pk_fma_f32 v[188:189], v[84:85], s[50:51], v[190:191] op_sel:[0,0,1] op_sel_hi:[1,0,0] neg_lo:[0,0,1] neg_hi:[0,0,1]
	v_pk_fma_f32 v[190:191], v[84:85], s[50:51], v[190:191] op_sel:[0,0,1] op_sel_hi:[1,0,0]
	v_mov_b32_e32 v194, v188
	v_mov_b32_e32 v195, v191
	v_pk_add_f32 v[194:195], v[194:195], v[192:193]
	v_pk_fma_f32 v[196:197], v[44:45], s[72:73], v[198:199] neg_lo:[1,0,0] neg_hi:[1,0,0]
	v_pk_fma_f32 v[192:193], v[44:45], s[72:73], v[198:199]
	v_pk_fma_f32 v[96:97], v[48:49], s[30:31], v[200:201]
	v_mov_b32_e32 v197, v193
	v_pk_add_f32 v[194:195], v[196:197], v[194:195]
	v_pk_fma_f32 v[196:197], v[48:49], s[30:31], v[200:201] neg_lo:[1,0,0] neg_hi:[1,0,0]
	s_mov_b32 s77, 0x3f4c4adb
	s_mov_b32 s76, s52
	v_mov_b32_e32 v197, v97
	s_mov_b32 s74, s77
	s_mov_b32 s75, s52
	v_pk_mul_f32 v[216:217], v[88:89], s[76:77]
	v_pk_add_f32 v[196:197], v[196:197], v[194:195]
	v_pk_fma_f32 v[218:219], v[52:53], s[74:75], v[216:217] neg_lo:[1,0,0] neg_hi:[1,0,0]
	v_pk_fma_f32 v[194:195], v[52:53], s[74:75], v[216:217]
	v_pk_mul_f32 v[220:221], v[90:91], s[64:65]
	v_mov_b32_e32 v219, v195
	v_pk_add_f32 v[218:219], v[218:219], v[196:197]
	v_pk_fma_f32 v[222:223], v[56:57], s[54:55], v[220:221] neg_lo:[1,0,0] neg_hi:[1,0,0]
	v_pk_fma_f32 v[196:197], v[56:57], s[54:55], v[220:221]
	s_mov_b32 s70, s71
	v_mov_b32_e32 v223, v197
	v_pk_mul_f32 v[92:93], v[92:93], s[70:71] op_sel_hi:[1,0]
	v_pk_add_f32 v[218:219], v[222:223], v[218:219]
	v_pk_fma_f32 v[222:223], v[78:79], s[68:69], v[92:93] op_sel:[0,0,1] op_sel_hi:[1,0,0] neg_lo:[0,0,1] neg_hi:[0,0,1]
	v_pk_fma_f32 v[92:93], v[78:79], s[68:69], v[92:93] op_sel:[0,0,1] op_sel_hi:[1,0,0]
	s_mov_b32 s68, s67
	v_pk_mul_f32 v[94:95], v[94:95], s[68:69] op_sel_hi:[1,0]
	v_mov_b32_e32 v224, v222
	v_mov_b32_e32 v225, v93
	v_pk_fma_f32 v[226:227], v[80:81], s[62:63], v[94:95] op_sel:[0,0,1] op_sel_hi:[1,0,0] neg_lo:[0,0,1] neg_hi:[0,0,1]
	v_pk_fma_f32 v[94:95], v[80:81], s[62:63], v[94:95] op_sel:[0,0,1] op_sel_hi:[1,0,0]
	s_mov_b32 s62, s65
	v_pk_add_f32 v[224:225], v[46:47], v[224:225]
	v_mov_b32_e32 v228, v226
	v_mov_b32_e32 v229, v95
	v_pk_mul_f32 v[98:99], v[98:99], s[62:63] op_sel_hi:[1,0]
	v_pk_add_f32 v[224:225], v[228:229], v[224:225]
	v_pk_fma_f32 v[228:229], v[82:83], s[64:65], v[98:99] op_sel:[0,0,1] op_sel_hi:[1,0,0] neg_lo:[0,0,1] neg_hi:[0,0,1]
	v_pk_fma_f32 v[98:99], v[82:83], s[64:65], v[98:99] op_sel:[0,0,1] op_sel_hi:[1,0,0]
	v_mov_b32_e32 v230, v228
	v_mov_b32_e32 v231, v99
	v_pk_mul_f32 v[104:105], v[104:105], s[66:67] op_sel_hi:[1,0]
	v_pk_add_f32 v[224:225], v[230:231], v[224:225]
	v_pk_fma_f32 v[230:231], v[84:85], s[58:59], v[104:105] op_sel:[0,0,1] op_sel_hi:[1,0,0] neg_lo:[0,0,1] neg_hi:[0,0,1]
	v_pk_fma_f32 v[104:105], v[84:85], s[58:59], v[104:105] op_sel:[0,0,1] op_sel_hi:[1,0,0]
	v_mov_b32_e32 v232, v230
	v_mov_b32_e32 v233, v105
	v_pk_mul_f32 v[86:87], v[86:87], s[46:47]
	v_pk_add_f32 v[224:225], v[232:233], v[224:225]
	v_pk_fma_f32 v[232:233], v[44:45], s[26:27], v[86:87] neg_lo:[1,0,0] neg_hi:[1,0,0]
	v_pk_fma_f32 v[234:235], v[44:45], s[26:27], v[86:87]
	s_mov_b32 s43, s48
	v_mov_b32_e32 v233, v235
	v_pk_add_f32 v[224:225], v[232:233], v[224:225]
	v_pk_fma_f32 v[232:233], v[48:49], s[42:43], v[124:125] neg_lo:[1,0,0] neg_hi:[1,0,0]
	v_pk_fma_f32 v[236:237], v[48:49], s[42:43], v[124:125]
	v_pk_mul_f32 v[88:89], v[88:89], s[50:51]
	v_mov_b32_e32 v233, v237
	v_pk_add_f32 v[224:225], v[232:233], v[224:225]
	v_pk_fma_f32 v[232:233], v[52:53], s[56:57], v[88:89] neg_lo:[1,0,0] neg_hi:[1,0,0]
	v_pk_fma_f32 v[238:239], v[52:53], s[56:57], v[88:89]
	v_pk_mul_f32 v[90:91], v[90:91], s[52:53]
	v_mov_b32_e32 v233, v239
	v_pk_add_f32 v[224:225], v[232:233], v[224:225]
	v_pk_fma_f32 v[232:233], v[56:57], s[28:29], v[90:91] neg_lo:[1,0,0] neg_hi:[1,0,0]
	v_pk_fma_f32 v[240:241], v[56:57], s[28:29], v[90:91]
	v_mul_f32_e32 v4, 0xbf1a4643, v78
	v_mov_b32_e32 v233, v241
	v_pk_add_f32 v[224:225], v[232:233], v[224:225]
	ds_write2_b64 v215, v[218:219], v[224:225] offset0:4 offset1:5
	v_pk_mul_f32 v[218:219], v[78:79], s[18:19] op_sel:[1,0]
	v_mov_b32_e32 v93, v223
	v_pk_add_f32 v[100:101], v[100:101], v[218:219]
	v_pk_mul_f32 v[218:219], v[80:81], s[20:21] op_sel:[1,0]
	v_mov_b32_e32 v79, v100
	v_pk_add_f32 v[102:103], v[102:103], v[218:219]
	;; [unrolled: 3-line block ×7, first 2 shown]
	v_sub_f32_e32 v218, v4, v210
	v_mul_f32_e32 v4, 0xbe8c1d8e, v80
	v_mov_b32_e32 v219, v101
	v_sub_f32_e32 v224, v4, v212
	v_pk_add_f32 v[218:219], v[46:47], v[218:219]
	v_mul_f32_e32 v4, 0x3f6eb680, v82
	v_pk_add_f32 v[218:219], v[224:225], v[218:219]
	v_sub_f32_e32 v212, v4, v213
	v_mov_b32_e32 v213, v107
	v_mul_f32_e32 v4, 0xbf59a7d5, v84
	v_pk_add_f32 v[212:213], v[212:213], v[218:219]
	v_sub_f32_e32 v218, v4, v214
	v_mov_b32_e32 v219, v109
	;; [unrolled: 4-line block ×4, first 2 shown]
	v_mul_f32_e32 v4, 0xbf7ba420, v62
	v_pk_add_f32 v[212:213], v[218:219], v[212:213]
	v_sub_f32_e32 v218, v4, v71
	v_mul_f32_e32 v4, 0xbf59a7d5, v78
	v_sub_f32_e32 v78, v4, v207
	v_mul_f32_e32 v4, 0x3ee437d1, v80
	v_sub_f32_e32 v80, v4, v208
	v_pk_add_f32 v[78:79], v[46:47], v[78:79]
	v_mul_f32_e32 v4, 0x3dbcf732, v82
	v_pk_add_f32 v[78:79], v[80:81], v[78:79]
	v_sub_f32_e32 v80, v4, v209
	v_mov_b32_e32 v81, v106
	v_mul_f32_e32 v4, 0xbf1a4643, v84
	v_pk_add_f32 v[78:79], v[80:81], v[78:79]
	v_sub_f32_e32 v80, v4, v211
	v_mov_b32_e32 v81, v108
	v_mul_f32_e32 v4, 0x3f6eb680, v66
	v_pk_add_f32 v[78:79], v[80:81], v[78:79]
	v_sub_f32_e32 v66, v4, v59
	v_mul_f32_e32 v4, 0xbf7ba420, v64
	v_mov_b32_e32 v219, v77
	v_pk_mul_f32 v[224:225], v[60:61], s[4:5] op_sel:[1,0]
	v_pk_add_f32 v[66:67], v[66:67], v[78:79]
	v_sub_f32_e32 v64, v4, v55
	v_mul_f32_e32 v4, 0x3f3d2fb0, v62
	v_pk_add_f32 v[212:213], v[218:219], v[212:213]
	v_mul_f32_e32 v218, 0x3ee437d1, v60
	v_mov_b32_e32 v219, v69
	v_mov_b32_e32 v71, v225
	v_pk_add_f32 v[64:65], v[64:65], v[66:67]
	v_sub_f32_e32 v62, v4, v51
	v_mov_b32_e32 v63, v76
	v_mul_f32_e32 v60, 0xbe8c1d8e, v60
	v_mov_b32_e32 v61, v68
	v_mov_b32_e32 v59, v224
	v_pk_add_f32 v[70:71], v[218:219], v[70:71] neg_lo:[0,1] neg_hi:[0,1]
	v_pk_add_f32 v[218:219], v[68:69], v[224:225]
	v_pk_add_f32 v[62:63], v[62:63], v[64:65]
	v_pk_add_f32 v[64:65], v[60:61], v[58:59] neg_lo:[0,1] neg_hi:[0,1]
	v_pk_add_f32 v[58:59], v[60:61], v[58:59]
	v_mov_b32_e32 v71, v219
	v_mov_b32_e32 v65, v59
	v_pk_add_f32 v[70:71], v[70:71], v[212:213]
	v_pk_add_f32 v[58:59], v[64:65], v[62:63]
	ds_write2_b64 v215, v[70:71], v[58:59] offset0:6 offset1:7
	v_pk_fma_f32 v[58:59], v[44:45], s[26:27], v[86:87] neg_lo:[0,0,1] neg_hi:[0,0,1]
	v_pk_fma_f32 v[60:61], v[44:45], s[72:73], v[198:199] neg_lo:[0,0,1] neg_hi:[0,0,1]
	v_mov_b32_e32 v235, v59
	v_pk_fma_f32 v[58:59], v[48:49], s[42:43], v[124:125] neg_lo:[0,0,1] neg_hi:[0,0,1]
	v_mov_b32_e32 v193, v61
	;; [unrolled: 2-line block ×7, first 2 shown]
	v_mov_b32_e32 v95, v227
	v_pk_add_f32 v[58:59], v[46:47], v[92:93]
	v_mov_b32_e32 v197, v61
	v_pk_add_f32 v[60:61], v[46:47], v[178:179]
	;; [unrolled: 2-line block ×7, first 2 shown]
	v_pk_add_f32 v[60:61], v[190:191], v[60:61]
	v_pk_add_f32 v[58:59], v[234:235], v[58:59]
	;; [unrolled: 1-line block ×9, first 2 shown]
	ds_write2_b64 v215, v[58:59], v[60:61] offset0:12 offset1:13
	v_pk_fma_f32 v[58:59], v[44:45], s[54:55], v[168:169] neg_lo:[0,0,1] neg_hi:[0,0,1]
	v_mov_b32_e32 v147, v145
	v_mov_b32_e32 v161, v59
	v_pk_fma_f32 v[58:59], v[48:49], s[56:57], v[170:171] neg_lo:[0,0,1] neg_hi:[0,0,1]
	v_mov_b32_e32 v31, v29
	v_mov_b32_e32 v163, v59
	;; [unrolled: 3-line block ×3, first 2 shown]
	v_pk_fma_f32 v[58:59], v[56:57], s[30:31], v[174:175] neg_lo:[0,0,1] neg_hi:[0,0,1]
	v_pk_add_f32 v[28:29], v[46:47], v[30:31]
	v_mov_b32_e32 v167, v59
	v_pk_add_f32 v[58:59], v[46:47], v[146:147]
	v_mov_b32_e32 v35, v33
	;; [unrolled: 2-line block ×5, first 2 shown]
	v_pk_fma_f32 v[60:61], v[44:45], s[36:37], v[118:119] neg_lo:[0,0,1] neg_hi:[0,0,1]
	v_pk_add_f32 v[28:29], v[128:129], v[28:29]
	v_mov_b32_e32 v133, v131
	v_pk_add_f32 v[58:59], v[158:159], v[58:59]
	v_mov_b32_e32 v135, v61
	v_pk_fma_f32 v[60:61], v[48:49], s[38:39], v[120:121] neg_lo:[0,0,1] neg_hi:[0,0,1]
	v_pk_add_f32 v[28:29], v[132:133], v[28:29]
	v_pk_add_f32 v[58:59], v[160:161], v[58:59]
	v_mov_b32_e32 v137, v61
	v_pk_fma_f32 v[60:61], v[52:53], s[40:41], v[122:123] neg_lo:[0,0,1] neg_hi:[0,0,1]
	v_pk_add_f32 v[28:29], v[134:135], v[28:29]
	;; [unrolled: 4-line block ×3, first 2 shown]
	v_mov_b32_e32 v7, v5
	v_pk_add_f32 v[58:59], v[164:165], v[58:59]
	v_mov_b32_e32 v141, v61
	v_pk_add_f32 v[28:29], v[138:139], v[28:29]
	v_pk_add_f32 v[4:5], v[46:47], v[6:7]
	v_mov_b32_e32 v11, v9
	v_pk_add_f32 v[58:59], v[166:167], v[58:59]
	v_pk_add_f32 v[28:29], v[140:141], v[28:29]
	;; [unrolled: 1-line block ×3, first 2 shown]
	v_mov_b32_e32 v15, v13
	ds_write2_b64 v215, v[58:59], v[28:29] offset0:14 offset1:15
	v_pk_fma_f32 v[28:29], v[44:45], s[34:35], v[114:115] neg_lo:[0,0,1] neg_hi:[0,0,1]
	v_pk_add_f32 v[4:5], v[14:15], v[4:5]
	v_mov_b32_e32 v19, v17
	v_mov_b32_e32 v21, v29
	v_pk_fma_f32 v[28:29], v[48:49], s[28:29], v[116:117] neg_lo:[0,0,1] neg_hi:[0,0,1]
	v_pk_add_f32 v[4:5], v[18:19], v[4:5]
	v_mov_b32_e32 v23, v29
	v_pk_fma_f32 v[28:29], v[52:53], s[30:31], v[112:113] neg_lo:[0,0,1] neg_hi:[0,0,1]
	v_pk_add_f32 v[4:5], v[20:21], v[4:5]
	;; [unrolled: 3-line block ×3, first 2 shown]
	v_mov_b32_e32 v27, v29
	v_pk_add_f32 v[4:5], v[24:25], v[4:5]
	v_mov_b32_e32 v55, v42
	v_mov_b32_e32 v51, v43
	v_pk_add_f32 v[4:5], v[26:27], v[4:5]
	ds_write2_b64 v215, v[0:1], v[2:3] offset0:8 offset1:9
	ds_write2_b64 v215, v[54:55], v[50:51] offset0:10 offset1:11
	ds_write_b64 v215, v[4:5] offset:128
.LBB0_22:
	s_or_b64 exec, exec, s[16:17]
	v_add_u32_e32 v8, 0x400, v41
	v_add_u32_e32 v12, 0x800, v41
	s_waitcnt lgkmcnt(0)
	s_barrier
	ds_read2_b64 v[4:7], v41 offset0:68 offset1:170
	ds_read2_b64 v[8:11], v8 offset0:110 offset1:212
	;; [unrolled: 1-line block ×3, first 2 shown]
	ds_read_b64 v[16:17], v204
	ds_read_b64 v[18:19], v41 offset:4624
	v_cmp_gt_u32_e32 vcc, 34, v40
	v_cmp_lt_u32_e64 s[2:3], 33, v40
	s_and_saveexec_b64 s[4:5], s[2:3]
	s_xor_b64 s[2:3], exec, s[4:5]
	s_andn2_saveexec_b64 s[2:3], s[2:3]
	s_cbranch_execz .LBB0_24
; %bb.23:
	v_add_u32_e32 v0, 0x400, v41
	v_add_u32_e32 v1, 0xc00, v41
	ds_read2_b32 v[54:55], v1 offset0:184 offset1:185
	ds_read_b64 v[50:51], v41 offset:5168
	ds_read2_b64 v[0:3], v0 offset0:8 offset1:178
	s_waitcnt lgkmcnt(2)
	v_mov_b32_e32 v42, v55
	s_waitcnt lgkmcnt(1)
	v_mov_b32_e32 v43, v51
.LBB0_24:
	s_or_b64 exec, exec, s[2:3]
	s_movk_i32 s4, 0xf1
	v_add_u16_e32 v22, 0x44, v40
	v_mul_lo_u16_sdwa v20, v40, s4 dst_sel:DWORD dst_unused:UNUSED_PAD src0_sel:BYTE_0 src1_sel:DWORD
	v_mul_lo_u16_sdwa v23, v22, s4 dst_sel:DWORD dst_unused:UNUSED_PAD src0_sel:BYTE_0 src1_sel:DWORD
	v_lshrrev_b16_e32 v21, 12, v20
	v_lshrrev_b16_e32 v35, 12, v23
	v_mul_lo_u16_e32 v20, 17, v21
	v_mul_lo_u16_e32 v23, 17, v35
	v_sub_u16_e32 v34, v40, v20
	v_mov_b32_e32 v20, 3
	v_sub_u16_e32 v44, v22, v23
	v_mul_u32_u24_sdwa v22, v44, v20 dst_sel:DWORD dst_unused:UNUSED_PAD src0_sel:BYTE_0 src1_sel:DWORD
	v_lshlrev_b32_e32 v26, 3, v22
	global_load_dwordx2 v[30:31], v26, s[8:9] offset:16
	global_load_dwordx4 v[22:25], v26, s[8:9]
	v_mul_u32_u24_sdwa v26, v34, v20 dst_sel:DWORD dst_unused:UNUSED_PAD src0_sel:BYTE_0 src1_sel:DWORD
	v_lshlrev_b32_e32 v45, 3, v26
	global_load_dwordx4 v[26:29], v45, s[8:9]
	global_load_dwordx2 v[32:33], v45, s[8:9] offset:16
	s_movk_i32 s5, 0x220
	v_mad_u32_u24 v21, v21, s5, 0
	v_mad_u32_u24 v35, v35, s5, 0
	v_lshlrev_b32_sdwa v34, v20, v34 dst_sel:DWORD dst_unused:UNUSED_PAD src0_sel:DWORD src1_sel:BYTE_0
	v_lshlrev_b32_sdwa v44, v20, v44 dst_sel:DWORD dst_unused:UNUSED_PAD src0_sel:DWORD src1_sel:BYTE_0
	v_add3_u32 v21, v21, v34, v203
	v_add3_u32 v51, v35, v44, v203
	s_waitcnt lgkmcnt(0)
	s_barrier
	s_waitcnt vmcnt(3)
	v_pk_mul_f32 v[46:47], v[30:31], v[18:19] op_sel:[0,1]
	s_waitcnt vmcnt(2)
	v_pk_mul_f32 v[34:35], v[22:23], v[8:9] op_sel:[0,1]
	v_pk_mul_f32 v[44:45], v[24:25], v[12:13] op_sel:[0,1]
	s_waitcnt vmcnt(1)
	v_pk_mul_f32 v[48:49], v[26:27], v[6:7] op_sel:[0,1]
	;; [unrolled: 3-line block ×3, first 2 shown]
	v_pk_fma_f32 v[58:59], v[22:23], v[8:9], v[34:35] op_sel:[0,0,1] op_sel_hi:[1,1,0] neg_lo:[0,0,1] neg_hi:[0,0,1]
	v_pk_fma_f32 v[8:9], v[22:23], v[8:9], v[34:35] op_sel:[0,0,1] op_sel_hi:[1,0,0]
	v_pk_fma_f32 v[22:23], v[24:25], v[12:13], v[44:45] op_sel:[0,0,1] op_sel_hi:[1,1,0] neg_lo:[0,0,1] neg_hi:[0,0,1]
	v_pk_fma_f32 v[12:13], v[24:25], v[12:13], v[44:45] op_sel:[0,0,1] op_sel_hi:[1,0,0]
	;; [unrolled: 2-line block ×6, first 2 shown]
	v_mov_b32_e32 v31, v7
	v_mov_b32_e32 v27, v11
	;; [unrolled: 1-line block ×6, first 2 shown]
	v_pk_add_f32 v[10:11], v[16:17], v[26:27] neg_lo:[0,1] neg_hi:[0,1]
	v_pk_add_f32 v[12:13], v[30:31], v[28:29] neg_lo:[0,1] neg_hi:[0,1]
	;; [unrolled: 1-line block ×4, first 2 shown]
	v_pk_fma_f32 v[16:17], v[16:17], 2.0, v[10:11] op_sel_hi:[1,0,1] neg_lo:[0,0,1] neg_hi:[0,0,1]
	v_pk_fma_f32 v[18:19], v[30:31], 2.0, v[12:13] op_sel_hi:[1,0,1] neg_lo:[0,0,1] neg_hi:[0,0,1]
	v_pk_add_f32 v[22:23], v[10:11], v[12:13] op_sel:[0,1] op_sel_hi:[1,0] neg_lo:[0,1] neg_hi:[0,1]
	v_pk_add_f32 v[12:13], v[10:11], v[12:13] op_sel:[0,1] op_sel_hi:[1,0]
	v_pk_fma_f32 v[4:5], v[4:5], 2.0, v[6:7] op_sel_hi:[1,0,1] neg_lo:[0,0,1] neg_hi:[0,0,1]
	v_pk_fma_f32 v[14:15], v[58:59], 2.0, v[8:9] op_sel_hi:[1,0,1] neg_lo:[0,0,1] neg_hi:[0,0,1]
	v_pk_add_f32 v[24:25], v[6:7], v[8:9] op_sel:[0,1] op_sel_hi:[1,0] neg_lo:[0,1] neg_hi:[0,1]
	v_pk_add_f32 v[8:9], v[6:7], v[8:9] op_sel:[0,1] op_sel_hi:[1,0]
	v_pk_add_f32 v[18:19], v[16:17], v[18:19] neg_lo:[0,1] neg_hi:[0,1]
	v_mov_b32_e32 v23, v13
	v_pk_add_f32 v[14:15], v[4:5], v[14:15] neg_lo:[0,1] neg_hi:[0,1]
	v_mov_b32_e32 v25, v9
	v_pk_fma_f32 v[8:9], v[16:17], 2.0, v[18:19] op_sel_hi:[1,0,1] neg_lo:[0,0,1] neg_hi:[0,0,1]
	v_pk_fma_f32 v[10:11], v[10:11], 2.0, v[22:23] op_sel_hi:[1,0,1] neg_lo:[0,0,1] neg_hi:[0,0,1]
	;; [unrolled: 1-line block ×3, first 2 shown]
	ds_write2_b64 v21, v[18:19], v[22:23] offset0:34 offset1:51
	v_pk_fma_f32 v[6:7], v[6:7], 2.0, v[24:25] op_sel_hi:[1,0,1] neg_lo:[0,0,1] neg_hi:[0,0,1]
	ds_write2_b64 v21, v[8:9], v[10:11] offset1:17
	ds_write2_b64 v51, v[4:5], v[6:7] offset1:17
	ds_write2_b64 v51, v[14:15], v[24:25] offset0:34 offset1:51
	s_and_saveexec_b64 s[2:3], vcc
	s_cbranch_execz .LBB0_26
; %bb.25:
	v_add_u16_e32 v4, 0x88, v40
	v_mul_lo_u16_sdwa v5, v4, s4 dst_sel:DWORD dst_unused:UNUSED_PAD src0_sel:BYTE_0 src1_sel:DWORD
	v_lshrrev_b16_e32 v11, 12, v5
	v_mul_lo_u16_e32 v5, 17, v11
	v_sub_u16_e32 v12, v4, v5
	v_mul_u32_u24_sdwa v4, v12, v20 dst_sel:DWORD dst_unused:UNUSED_PAD src0_sel:BYTE_0 src1_sel:DWORD
	v_lshlrev_b32_e32 v10, 3, v4
	global_load_dwordx4 v[4:7], v10, s[8:9]
	global_load_dwordx2 v[8:9], v10, s[8:9] offset:16
	v_mov_b32_e32 v10, v3
	v_mad_u32_u24 v3, v11, s5, 0
	v_lshlrev_b32_sdwa v11, v20, v12 dst_sel:DWORD dst_unused:UNUSED_PAD src0_sel:DWORD src1_sel:BYTE_0
	v_add3_u32 v18, v3, v11, v203
	s_waitcnt vmcnt(1)
	v_pk_mul_f32 v[12:13], v[42:43], v[6:7] op_sel_hi:[0,1]
	v_pk_mul_f32 v[10:11], v[10:11], v[4:5] op_sel_hi:[0,1]
	s_waitcnt vmcnt(0)
	v_pk_mul_f32 v[14:15], v[42:43], v[8:9] op_sel:[1,0]
	v_pk_fma_f32 v[16:17], v[54:55], v[6:7], v[12:13] op_sel:[0,0,1] op_sel_hi:[1,1,0] neg_lo:[0,0,1] neg_hi:[0,0,1]
	v_pk_fma_f32 v[6:7], v[54:55], v[6:7], v[12:13] op_sel:[0,0,1] op_sel_hi:[0,1,0]
	v_pk_fma_f32 v[12:13], v[2:3], v[4:5], v[10:11] op_sel:[0,0,1] op_sel_hi:[1,1,0] neg_lo:[0,0,1] neg_hi:[0,0,1]
	v_pk_fma_f32 v[2:3], v[2:3], v[4:5], v[10:11] op_sel:[0,0,1] op_sel_hi:[0,1,0]
	;; [unrolled: 2-line block ×3, first 2 shown]
	v_mov_b32_e32 v17, v7
	v_mov_b32_e32 v13, v3
	;; [unrolled: 1-line block ×3, first 2 shown]
	v_pk_add_f32 v[2:3], v[0:1], v[16:17] neg_lo:[0,1] neg_hi:[0,1]
	v_pk_add_f32 v[4:5], v[12:13], v[4:5] neg_lo:[0,1] neg_hi:[0,1]
	v_pk_fma_f32 v[0:1], v[0:1], 2.0, v[2:3] op_sel_hi:[1,0,1] neg_lo:[0,0,1] neg_hi:[0,0,1]
	v_pk_fma_f32 v[6:7], v[12:13], 2.0, v[4:5] op_sel_hi:[1,0,1] neg_lo:[0,0,1] neg_hi:[0,0,1]
	v_pk_add_f32 v[8:9], v[2:3], v[4:5] op_sel:[0,1] op_sel_hi:[1,0] neg_lo:[0,1] neg_hi:[0,1]
	v_pk_add_f32 v[4:5], v[2:3], v[4:5] op_sel:[0,1] op_sel_hi:[1,0]
	v_pk_add_f32 v[6:7], v[0:1], v[6:7] neg_lo:[0,1] neg_hi:[0,1]
	v_mov_b32_e32 v9, v5
	v_pk_fma_f32 v[0:1], v[0:1], 2.0, v[6:7] op_sel_hi:[1,0,1] neg_lo:[0,0,1] neg_hi:[0,0,1]
	v_pk_fma_f32 v[2:3], v[2:3], 2.0, v[8:9] op_sel_hi:[1,0,1] neg_lo:[0,0,1] neg_hi:[0,0,1]
	ds_write2_b64 v18, v[0:1], v[2:3] offset1:17
	ds_write2_b64 v18, v[6:7], v[8:9] offset0:34 offset1:51
.LBB0_26:
	s_or_b64 exec, exec, s[2:3]
	v_mul_u32_u24_e32 v0, 9, v40
	v_lshlrev_b32_e32 v16, 3, v0
	s_waitcnt lgkmcnt(0)
	s_barrier
	global_load_dwordx4 v[0:3], v16, s[8:9] offset:408
	global_load_dwordx4 v[4:7], v16, s[8:9] offset:424
	;; [unrolled: 1-line block ×4, first 2 shown]
	global_load_dwordx2 v[32:33], v16, s[8:9] offset:472
	v_add_u32_e32 v20, 0x400, v41
	v_add_u32_e32 v28, 0xc00, v41
	ds_read2_b64 v[16:19], v41 offset0:68 offset1:136
	v_add_u32_e32 v59, 0x800, v41
	ds_read_b64 v[34:35], v204
	ds_read_b64 v[42:43], v41 offset:4896
	ds_read2_b64 v[20:23], v20 offset0:76 offset1:144
	ds_read2_b64 v[24:27], v59 offset0:84 offset1:152
	;; [unrolled: 1-line block ×3, first 2 shown]
	s_mov_b32 s4, 0x3f737871
	s_mov_b32 s2, 0x3f167918
	;; [unrolled: 1-line block ×4, first 2 shown]
	s_waitcnt lgkmcnt(0)
	s_barrier
	s_mov_b32 s14, 0xbf737871
	s_mov_b32 s15, s4
	s_waitcnt vmcnt(4)
	v_pk_mul_f32 v[44:45], v[0:1], v[16:17] op_sel:[0,1]
	v_pk_mul_f32 v[46:47], v[2:3], v[18:19] op_sel:[0,1]
	s_waitcnt vmcnt(3)
	v_pk_mul_f32 v[48:49], v[4:5], v[20:21] op_sel:[0,1]
	v_pk_mul_f32 v[50:51], v[6:7], v[22:23] op_sel:[0,1]
	s_waitcnt vmcnt(2)
	v_pk_mul_f32 v[52:53], v[8:9], v[24:25] op_sel:[0,1]
	s_waitcnt vmcnt(1)
	;; [unrolled: 2-line block ×3, first 2 shown]
	v_pk_mul_f32 v[60:61], v[42:43], v[32:33] op_sel:[0,1]
	v_mov_b32_e32 v54, v11
	v_pk_fma_f32 v[62:63], v[0:1], v[16:17], v[44:45] op_sel:[0,0,1] op_sel_hi:[1,1,0] neg_lo:[0,0,1] neg_hi:[0,0,1]
	v_pk_fma_f32 v[0:1], v[0:1], v[16:17], v[44:45] op_sel:[0,0,1] op_sel_hi:[1,0,0]
	v_pk_fma_f32 v[16:17], v[2:3], v[18:19], v[46:47] op_sel:[0,0,1] op_sel_hi:[1,1,0] neg_lo:[0,0,1] neg_hi:[0,0,1]
	v_pk_fma_f32 v[2:3], v[2:3], v[18:19], v[46:47] op_sel:[0,0,1] op_sel_hi:[1,0,0]
	;; [unrolled: 2-line block ×7, first 2 shown]
	v_mov_b32_e32 v58, v15
	v_pk_mul_f32 v[24:25], v[26:27], v[54:55] op_sel_hi:[1,0]
	v_mov_b32_e32 v19, v5
	v_mov_b32_e32 v23, v9
	;; [unrolled: 1-line block ×4, first 2 shown]
	v_pk_mul_f32 v[28:29], v[30:31], v[58:59] op_sel_hi:[1,0]
	v_mov_b32_e32 v63, v1
	v_mov_b32_e32 v17, v3
	v_pk_fma_f32 v[0:1], v[26:27], v[10:11], v[24:25] op_sel:[0,0,1] op_sel_hi:[1,1,0] neg_lo:[0,0,1] neg_hi:[0,0,1]
	v_pk_fma_f32 v[2:3], v[26:27], v[10:11], v[24:25] op_sel:[0,0,1] op_sel_hi:[1,0,0]
	v_pk_add_f32 v[10:11], v[22:23], v[44:45]
	v_pk_add_f32 v[12:13], v[18:19], v[46:47] neg_lo:[0,1] neg_hi:[0,1]
	v_mov_b32_e32 v21, v7
	v_pk_fma_f32 v[4:5], v[30:31], v[14:15], v[28:29] op_sel:[0,0,1] op_sel_hi:[1,1,0] neg_lo:[0,0,1] neg_hi:[0,0,1]
	v_pk_fma_f32 v[6:7], v[30:31], v[14:15], v[28:29] op_sel:[0,0,1] op_sel_hi:[1,0,0]
	v_pk_fma_f32 v[10:11], v[10:11], 0.5, v[62:63] op_sel_hi:[1,0,1] neg_lo:[1,0,0] neg_hi:[1,0,0]
	v_pk_mul_f32 v[30:31], v[12:13], s[4:5] op_sel_hi:[1,0]
	v_pk_add_f32 v[48:49], v[22:23], v[44:45] neg_lo:[0,1] neg_hi:[0,1]
	v_pk_add_f32 v[52:53], v[18:19], v[22:23] neg_lo:[0,1] neg_hi:[0,1]
	;; [unrolled: 1-line block ×3, first 2 shown]
	v_mov_b32_e32 v1, v3
	v_mov_b32_e32 v5, v7
	v_pk_mul_f32 v[50:51], v[48:49], s[2:3] op_sel_hi:[1,0]
	v_pk_add_f32 v[52:53], v[52:53], v[54:55]
	v_pk_add_f32 v[54:55], v[10:11], v[30:31] op_sel:[0,1] op_sel_hi:[1,0]
	v_pk_add_f32 v[10:11], v[10:11], v[30:31] op_sel:[0,1] op_sel_hi:[1,0] neg_lo:[0,1] neg_hi:[0,1]
	v_pk_add_f32 v[14:15], v[20:21], v[0:1]
	v_pk_add_f32 v[24:25], v[16:17], v[4:5] neg_lo:[0,1] neg_hi:[0,1]
	v_pk_add_f32 v[10:11], v[10:11], v[50:51] op_sel:[0,1] op_sel_hi:[1,0] neg_lo:[0,1] neg_hi:[0,1]
	v_pk_add_f32 v[30:31], v[54:55], v[50:51] op_sel:[0,1] op_sel_hi:[1,0]
	v_pk_add_f32 v[8:9], v[16:17], v[20:21] neg_lo:[0,1] neg_hi:[0,1]
	v_pk_add_f32 v[26:27], v[20:21], v[0:1] neg_lo:[0,1] neg_hi:[0,1]
	;; [unrolled: 1-line block ×3, first 2 shown]
	v_pk_fma_f32 v[14:15], v[14:15], 0.5, v[34:35] op_sel_hi:[1,0,1] neg_lo:[1,0,0] neg_hi:[1,0,0]
	v_pk_mul_f32 v[32:33], v[24:25], s[4:5] op_sel_hi:[1,0]
	v_mov_b32_e32 v50, v30
	v_mov_b32_e32 v51, v11
	v_pk_add_f32 v[2:3], v[34:35], v[16:17]
	v_pk_add_f32 v[6:7], v[62:63], v[18:19]
	v_pk_mul_f32 v[42:43], v[26:27], s[2:3] op_sel_hi:[1,0]
	v_pk_add_f32 v[8:9], v[8:9], v[28:29]
	v_pk_add_f32 v[28:29], v[14:15], v[32:33] op_sel:[0,1] op_sel_hi:[1,0]
	v_pk_add_f32 v[14:15], v[14:15], v[32:33] op_sel:[0,1] op_sel_hi:[1,0] neg_lo:[0,1] neg_hi:[0,1]
	v_pk_fma_f32 v[50:51], v[52:53], s[8:9], v[50:51] op_sel_hi:[1,0,1]
	v_pk_add_f32 v[2:3], v[2:3], v[20:21]
	v_pk_add_f32 v[6:7], v[6:7], v[22:23]
	v_pk_add_f32 v[14:15], v[14:15], v[42:43] op_sel:[0,1] op_sel_hi:[1,0] neg_lo:[0,1] neg_hi:[0,1]
	v_pk_add_f32 v[28:29], v[28:29], v[42:43] op_sel:[0,1] op_sel_hi:[1,0]
	v_pk_mul_f32 v[54:55], v[50:51], s[2:3] op_sel_hi:[1,0]
	v_pk_add_f32 v[2:3], v[2:3], v[0:1]
	v_pk_add_f32 v[6:7], v[6:7], v[44:45]
	v_mov_b32_e32 v42, v28
	v_mov_b32_e32 v43, v15
	v_pk_fma_f32 v[56:57], v[50:51], s[12:13], v[54:55] op_sel:[0,0,1] op_sel_hi:[1,0,0]
	v_pk_fma_f32 v[50:51], v[50:51], s[12:13], v[54:55] op_sel:[0,0,1] op_sel_hi:[1,0,0] neg_lo:[0,0,1] neg_hi:[0,0,1]
	v_pk_add_f32 v[2:3], v[2:3], v[4:5]
	v_pk_add_f32 v[6:7], v[6:7], v[46:47]
	v_pk_fma_f32 v[42:43], v[8:9], s[8:9], v[42:43] op_sel_hi:[1,0,1]
	v_mov_b32_e32 v57, v51
	v_pk_add_f32 v[32:33], v[2:3], v[6:7]
	v_pk_add_f32 v[50:51], v[42:43], v[56:57]
	ds_write2_b64 v41, v[32:33], v[50:51] offset1:68
	v_pk_add_f32 v[32:33], v[16:17], v[4:5]
	v_pk_add_f32 v[16:17], v[20:21], v[16:17] neg_lo:[0,1] neg_hi:[0,1]
	v_pk_add_f32 v[0:1], v[0:1], v[4:5] neg_lo:[0,1] neg_hi:[0,1]
	v_pk_add_f32 v[4:5], v[18:19], v[46:47]
	v_pk_add_f32 v[0:1], v[16:17], v[0:1]
	v_pk_fma_f32 v[4:5], v[4:5], 0.5, v[62:63] op_sel_hi:[1,0,1] neg_lo:[1,0,0] neg_hi:[1,0,0]
	v_pk_add_f32 v[16:17], v[22:23], v[18:19] neg_lo:[0,1] neg_hi:[0,1]
	v_pk_add_f32 v[18:19], v[44:45], v[46:47] neg_lo:[0,1] neg_hi:[0,1]
	v_pk_mul_f32 v[20:21], v[24:25], s[2:3] op_sel_hi:[1,0]
	v_pk_mul_f32 v[24:25], v[48:49], s[4:5] op_sel_hi:[1,0]
	v_pk_add_f32 v[16:17], v[16:17], v[18:19]
	v_pk_mul_f32 v[18:19], v[26:27], s[4:5] op_sel_hi:[1,0]
	v_pk_mul_f32 v[12:13], v[12:13], s[2:3] op_sel_hi:[1,0]
	v_pk_add_f32 v[26:27], v[4:5], v[24:25] op_sel:[0,1] op_sel_hi:[1,0] neg_lo:[0,1] neg_hi:[0,1]
	v_pk_add_f32 v[4:5], v[4:5], v[24:25] op_sel:[0,1] op_sel_hi:[1,0]
	v_pk_fma_f32 v[32:33], v[32:33], 0.5, v[34:35] op_sel_hi:[1,0,1] neg_lo:[1,0,0] neg_hi:[1,0,0]
	v_pk_add_f32 v[4:5], v[4:5], v[12:13] op_sel:[0,1] op_sel_hi:[1,0] neg_lo:[0,1] neg_hi:[0,1]
	v_pk_add_f32 v[12:13], v[26:27], v[12:13] op_sel:[0,1] op_sel_hi:[1,0]
	v_mov_b32_e32 v25, v5
	v_mov_b32_e32 v24, v12
	v_pk_add_f32 v[22:23], v[32:33], v[18:19] op_sel:[0,1] op_sel_hi:[1,0] neg_lo:[0,1] neg_hi:[0,1]
	v_pk_add_f32 v[18:19], v[32:33], v[18:19] op_sel:[0,1] op_sel_hi:[1,0]
	v_pk_fma_f32 v[24:25], v[16:17], s[8:9], v[24:25] op_sel_hi:[1,0,1]
	v_mov_b32_e32 v5, v13
	v_pk_add_f32 v[18:19], v[18:19], v[20:21] op_sel:[0,1] op_sel_hi:[1,0] neg_lo:[0,1] neg_hi:[0,1]
	v_pk_add_f32 v[20:21], v[22:23], v[20:21] op_sel:[0,1] op_sel_hi:[1,0]
	v_pk_mul_f32 v[26:27], v[24:25], s[4:5] op_sel_hi:[1,0]
	v_pk_fma_f32 v[4:5], v[16:17], s[8:9], v[4:5] op_sel_hi:[1,0,1]
	v_mov_b32_e32 v22, v20
	v_mov_b32_e32 v23, v19
	v_pk_fma_f32 v[32:33], v[24:25], s[8:9], v[26:27] op_sel:[0,0,1] op_sel_hi:[1,0,0]
	v_pk_fma_f32 v[24:25], v[24:25], s[8:9], v[26:27] op_sel:[0,0,1] op_sel_hi:[1,0,0] neg_lo:[0,0,1] neg_hi:[0,0,1]
	v_mov_b32_e32 v19, v21
	v_pk_mul_f32 v[12:13], v[4:5], s[8:9] op_sel_hi:[1,0]
	v_pk_fma_f32 v[22:23], v[0:1], s[8:9], v[22:23] op_sel_hi:[1,0,1]
	v_mov_b32_e32 v33, v25
	v_pk_fma_f32 v[0:1], v[0:1], s[8:9], v[18:19] op_sel_hi:[1,0,1]
	v_pk_fma_f32 v[4:5], v[4:5], s[14:15], v[12:13] op_sel:[0,0,1] op_sel_hi:[1,1,0] neg_lo:[0,0,1] neg_hi:[0,0,1]
	v_mov_b32_e32 v11, v31
	v_pk_add_f32 v[24:25], v[22:23], v[32:33]
	v_pk_add_f32 v[12:13], v[0:1], v[4:5] op_sel:[0,1] op_sel_hi:[1,0]
	v_pk_fma_f32 v[10:11], v[52:53], s[8:9], v[10:11] op_sel_hi:[1,0,1]
	ds_write2_b64 v41, v[24:25], v[12:13] offset0:136 offset1:204
	v_mov_b32_e32 v15, v29
	s_mov_b32 s4, 0xbf167918
	s_mov_b32 s5, s2
	v_pk_mul_f32 v[12:13], v[10:11], s[12:13] op_sel_hi:[1,0]
	v_pk_fma_f32 v[8:9], v[8:9], s[8:9], v[14:15] op_sel_hi:[1,0,1]
	v_pk_fma_f32 v[10:11], v[10:11], s[4:5], v[12:13] op_sel:[0,0,1] op_sel_hi:[1,1,0] neg_lo:[0,0,1] neg_hi:[0,0,1]
	v_pk_add_f32 v[2:3], v[2:3], v[6:7] neg_lo:[0,1] neg_hi:[0,1]
	v_pk_add_f32 v[12:13], v[8:9], v[10:11] op_sel:[0,1] op_sel_hi:[1,0]
	ds_write2_b64 v59, v[12:13], v[2:3] offset0:16 offset1:84
	v_pk_add_f32 v[2:3], v[42:43], v[56:57] neg_lo:[0,1] neg_hi:[0,1]
	v_pk_add_f32 v[6:7], v[22:23], v[32:33] neg_lo:[0,1] neg_hi:[0,1]
	ds_write2_b64 v59, v[2:3], v[6:7] offset0:152 offset1:220
	v_pk_add_f32 v[0:1], v[0:1], v[4:5] op_sel:[0,1] op_sel_hi:[1,0] neg_lo:[0,1] neg_hi:[0,1]
	v_pk_add_f32 v[2:3], v[8:9], v[10:11] op_sel:[0,1] op_sel_hi:[1,0] neg_lo:[0,1] neg_hi:[0,1]
	v_add_u32_e32 v4, 0x1000, v41
	ds_write2_b64 v4, v[0:1], v[2:3] offset0:32 offset1:100
	s_waitcnt lgkmcnt(0)
	s_barrier
	s_and_saveexec_b64 s[2:3], s[0:1]
	s_cbranch_execz .LBB0_28
; %bb.27:
	v_mul_lo_u32 v0, s11, v38
	v_mul_lo_u32 v1, s10, v39
	v_mad_u64_u32 v[4:5], s[0:1], s10, v38, 0
	v_lshl_add_u32 v10, v40, 3, v202
	v_add3_u32 v5, v5, v1, v0
	ds_read2_b64 v[0:3], v10 offset1:68
	v_lshl_add_u64 v[4:5], v[4:5], 3, s[6:7]
	v_mov_b32_e32 v41, 0
	v_lshl_add_u64 v[8:9], v[36:37], 3, v[4:5]
	v_lshl_add_u64 v[4:5], v[40:41], 3, v[8:9]
	s_waitcnt lgkmcnt(0)
	global_store_dwordx2 v[4:5], v[0:1], off
	ds_read2_b64 v[4:7], v10 offset0:136 offset1:204
	v_add_u32_e32 v0, 0x44, v40
	v_mov_b32_e32 v1, v41
	v_lshl_add_u64 v[0:1], v[0:1], 3, v[8:9]
	global_store_dwordx2 v[0:1], v[2:3], off
	v_add_u32_e32 v0, 0x88, v40
	v_mov_b32_e32 v1, v41
	v_lshl_add_u64 v[0:1], v[0:1], 3, v[8:9]
	s_waitcnt lgkmcnt(0)
	global_store_dwordx2 v[0:1], v[4:5], off
	v_add_u32_e32 v0, 0xcc, v40
	v_mov_b32_e32 v1, v41
	v_add_u32_e32 v11, 0x800, v10
	v_lshl_add_u64 v[4:5], v[0:1], 3, v[8:9]
	ds_read2_b64 v[0:3], v11 offset0:16 offset1:84
	global_store_dwordx2 v[4:5], v[6:7], off
	v_add_u32_e32 v4, 0x110, v40
	v_mov_b32_e32 v5, v41
	v_lshl_add_u64 v[4:5], v[4:5], 3, v[8:9]
	s_waitcnt lgkmcnt(0)
	global_store_dwordx2 v[4:5], v[0:1], off
	ds_read2_b64 v[4:7], v11 offset0:152 offset1:220
	v_add_u32_e32 v0, 0x154, v40
	v_mov_b32_e32 v1, v41
	v_lshl_add_u64 v[0:1], v[0:1], 3, v[8:9]
	global_store_dwordx2 v[0:1], v[2:3], off
	v_add_u32_e32 v0, 0x198, v40
	v_mov_b32_e32 v1, v41
	v_lshl_add_u64 v[0:1], v[0:1], 3, v[8:9]
	s_waitcnt lgkmcnt(0)
	global_store_dwordx2 v[0:1], v[4:5], off
	v_add_u32_e32 v0, 0x1dc, v40
	v_mov_b32_e32 v1, v41
	v_lshl_add_u64 v[4:5], v[0:1], 3, v[8:9]
	v_add_u32_e32 v0, 0x1000, v10
	ds_read2_b64 v[0:3], v0 offset0:32 offset1:100
	global_store_dwordx2 v[4:5], v[6:7], off
	v_add_u32_e32 v4, 0x220, v40
	v_mov_b32_e32 v5, v41
	v_lshl_add_u64 v[4:5], v[4:5], 3, v[8:9]
	v_add_u32_e32 v40, 0x264, v40
	s_waitcnt lgkmcnt(0)
	global_store_dwordx2 v[4:5], v[0:1], off
	v_lshl_add_u64 v[0:1], v[40:41], 3, v[8:9]
	global_store_dwordx2 v[0:1], v[2:3], off
.LBB0_28:
	s_endpgm
	.section	.rodata,"a",@progbits
	.p2align	6, 0x0
	.amdhsa_kernel fft_rtc_fwd_len680_factors_17_4_10_wgs_204_tpt_68_halfLds_sp_op_CI_CI_unitstride_sbrr_C2R_dirReg
		.amdhsa_group_segment_fixed_size 0
		.amdhsa_private_segment_fixed_size 0
		.amdhsa_kernarg_size 104
		.amdhsa_user_sgpr_count 2
		.amdhsa_user_sgpr_dispatch_ptr 0
		.amdhsa_user_sgpr_queue_ptr 0
		.amdhsa_user_sgpr_kernarg_segment_ptr 1
		.amdhsa_user_sgpr_dispatch_id 0
		.amdhsa_user_sgpr_kernarg_preload_length 0
		.amdhsa_user_sgpr_kernarg_preload_offset 0
		.amdhsa_user_sgpr_private_segment_size 0
		.amdhsa_uses_dynamic_stack 0
		.amdhsa_enable_private_segment 0
		.amdhsa_system_sgpr_workgroup_id_x 1
		.amdhsa_system_sgpr_workgroup_id_y 0
		.amdhsa_system_sgpr_workgroup_id_z 0
		.amdhsa_system_sgpr_workgroup_info 0
		.amdhsa_system_vgpr_workitem_id 0
		.amdhsa_next_free_vgpr 242
		.amdhsa_next_free_sgpr 78
		.amdhsa_accum_offset 244
		.amdhsa_reserve_vcc 1
		.amdhsa_float_round_mode_32 0
		.amdhsa_float_round_mode_16_64 0
		.amdhsa_float_denorm_mode_32 3
		.amdhsa_float_denorm_mode_16_64 3
		.amdhsa_dx10_clamp 1
		.amdhsa_ieee_mode 1
		.amdhsa_fp16_overflow 0
		.amdhsa_tg_split 0
		.amdhsa_exception_fp_ieee_invalid_op 0
		.amdhsa_exception_fp_denorm_src 0
		.amdhsa_exception_fp_ieee_div_zero 0
		.amdhsa_exception_fp_ieee_overflow 0
		.amdhsa_exception_fp_ieee_underflow 0
		.amdhsa_exception_fp_ieee_inexact 0
		.amdhsa_exception_int_div_zero 0
	.end_amdhsa_kernel
	.text
.Lfunc_end0:
	.size	fft_rtc_fwd_len680_factors_17_4_10_wgs_204_tpt_68_halfLds_sp_op_CI_CI_unitstride_sbrr_C2R_dirReg, .Lfunc_end0-fft_rtc_fwd_len680_factors_17_4_10_wgs_204_tpt_68_halfLds_sp_op_CI_CI_unitstride_sbrr_C2R_dirReg
                                        ; -- End function
	.section	.AMDGPU.csdata,"",@progbits
; Kernel info:
; codeLenInByte = 10020
; NumSgprs: 84
; NumVgprs: 242
; NumAgprs: 0
; TotalNumVgprs: 242
; ScratchSize: 0
; MemoryBound: 0
; FloatMode: 240
; IeeeMode: 1
; LDSByteSize: 0 bytes/workgroup (compile time only)
; SGPRBlocks: 10
; VGPRBlocks: 30
; NumSGPRsForWavesPerEU: 84
; NumVGPRsForWavesPerEU: 242
; AccumOffset: 244
; Occupancy: 2
; WaveLimiterHint : 1
; COMPUTE_PGM_RSRC2:SCRATCH_EN: 0
; COMPUTE_PGM_RSRC2:USER_SGPR: 2
; COMPUTE_PGM_RSRC2:TRAP_HANDLER: 0
; COMPUTE_PGM_RSRC2:TGID_X_EN: 1
; COMPUTE_PGM_RSRC2:TGID_Y_EN: 0
; COMPUTE_PGM_RSRC2:TGID_Z_EN: 0
; COMPUTE_PGM_RSRC2:TIDIG_COMP_CNT: 0
; COMPUTE_PGM_RSRC3_GFX90A:ACCUM_OFFSET: 60
; COMPUTE_PGM_RSRC3_GFX90A:TG_SPLIT: 0
	.text
	.p2alignl 6, 3212836864
	.fill 256, 4, 3212836864
	.type	__hip_cuid_77d57047e1ff0227,@object ; @__hip_cuid_77d57047e1ff0227
	.section	.bss,"aw",@nobits
	.globl	__hip_cuid_77d57047e1ff0227
__hip_cuid_77d57047e1ff0227:
	.byte	0                               ; 0x0
	.size	__hip_cuid_77d57047e1ff0227, 1

	.ident	"AMD clang version 19.0.0git (https://github.com/RadeonOpenCompute/llvm-project roc-6.4.0 25133 c7fe45cf4b819c5991fe208aaa96edf142730f1d)"
	.section	".note.GNU-stack","",@progbits
	.addrsig
	.addrsig_sym __hip_cuid_77d57047e1ff0227
	.amdgpu_metadata
---
amdhsa.kernels:
  - .agpr_count:     0
    .args:
      - .actual_access:  read_only
        .address_space:  global
        .offset:         0
        .size:           8
        .value_kind:     global_buffer
      - .offset:         8
        .size:           8
        .value_kind:     by_value
      - .actual_access:  read_only
        .address_space:  global
        .offset:         16
        .size:           8
        .value_kind:     global_buffer
      - .actual_access:  read_only
        .address_space:  global
        .offset:         24
        .size:           8
        .value_kind:     global_buffer
      - .actual_access:  read_only
        .address_space:  global
        .offset:         32
        .size:           8
        .value_kind:     global_buffer
      - .offset:         40
        .size:           8
        .value_kind:     by_value
      - .actual_access:  read_only
        .address_space:  global
        .offset:         48
        .size:           8
        .value_kind:     global_buffer
      - .actual_access:  read_only
        .address_space:  global
        .offset:         56
        .size:           8
        .value_kind:     global_buffer
      - .offset:         64
        .size:           4
        .value_kind:     by_value
      - .actual_access:  read_only
        .address_space:  global
        .offset:         72
        .size:           8
        .value_kind:     global_buffer
      - .actual_access:  read_only
        .address_space:  global
        .offset:         80
        .size:           8
        .value_kind:     global_buffer
      - .actual_access:  read_only
        .address_space:  global
        .offset:         88
        .size:           8
        .value_kind:     global_buffer
      - .actual_access:  write_only
        .address_space:  global
        .offset:         96
        .size:           8
        .value_kind:     global_buffer
    .group_segment_fixed_size: 0
    .kernarg_segment_align: 8
    .kernarg_segment_size: 104
    .language:       OpenCL C
    .language_version:
      - 2
      - 0
    .max_flat_workgroup_size: 204
    .name:           fft_rtc_fwd_len680_factors_17_4_10_wgs_204_tpt_68_halfLds_sp_op_CI_CI_unitstride_sbrr_C2R_dirReg
    .private_segment_fixed_size: 0
    .sgpr_count:     84
    .sgpr_spill_count: 0
    .symbol:         fft_rtc_fwd_len680_factors_17_4_10_wgs_204_tpt_68_halfLds_sp_op_CI_CI_unitstride_sbrr_C2R_dirReg.kd
    .uniform_work_group_size: 1
    .uses_dynamic_stack: false
    .vgpr_count:     242
    .vgpr_spill_count: 0
    .wavefront_size: 64
amdhsa.target:   amdgcn-amd-amdhsa--gfx950
amdhsa.version:
  - 1
  - 2
...

	.end_amdgpu_metadata
